;; amdgpu-corpus repo=ROCm/rocFFT kind=compiled arch=gfx906 opt=O3
	.text
	.amdgcn_target "amdgcn-amd-amdhsa--gfx906"
	.amdhsa_code_object_version 6
	.protected	fft_rtc_back_len2160_factors_10_6_6_6_wgs_60_tpt_60_halfLds_sp_op_CI_CI_sbrr_dirReg ; -- Begin function fft_rtc_back_len2160_factors_10_6_6_6_wgs_60_tpt_60_halfLds_sp_op_CI_CI_sbrr_dirReg
	.globl	fft_rtc_back_len2160_factors_10_6_6_6_wgs_60_tpt_60_halfLds_sp_op_CI_CI_sbrr_dirReg
	.p2align	8
	.type	fft_rtc_back_len2160_factors_10_6_6_6_wgs_60_tpt_60_halfLds_sp_op_CI_CI_sbrr_dirReg,@function
fft_rtc_back_len2160_factors_10_6_6_6_wgs_60_tpt_60_halfLds_sp_op_CI_CI_sbrr_dirReg: ; @fft_rtc_back_len2160_factors_10_6_6_6_wgs_60_tpt_60_halfLds_sp_op_CI_CI_sbrr_dirReg
; %bb.0:
	s_load_dwordx4 s[16:19], s[4:5], 0x18
	s_load_dwordx4 s[12:15], s[4:5], 0x0
	;; [unrolled: 1-line block ×3, first 2 shown]
	v_mul_u32_u24_e32 v1, 0x445, v0
	v_mov_b32_e32 v5, 0
	s_waitcnt lgkmcnt(0)
	s_load_dwordx2 s[20:21], s[16:17], 0x0
	s_load_dwordx2 s[2:3], s[18:19], 0x0
	v_cmp_lt_u64_e64 s[0:1], s[14:15], 2
	v_mov_b32_e32 v85, 0
	v_add_u32_sdwa v7, s6, v1 dst_sel:DWORD dst_unused:UNUSED_PAD src0_sel:DWORD src1_sel:WORD_1
	v_mov_b32_e32 v8, v5
	s_and_b64 vcc, exec, s[0:1]
	v_mov_b32_e32 v86, 0
	s_cbranch_vccnz .LBB0_8
; %bb.1:
	s_load_dwordx2 s[0:1], s[4:5], 0x10
	s_add_u32 s6, s18, 8
	s_addc_u32 s7, s19, 0
	s_add_u32 s22, s16, 8
	s_addc_u32 s23, s17, 0
	v_mov_b32_e32 v85, 0
	s_waitcnt lgkmcnt(0)
	s_add_u32 s24, s0, 8
	v_mov_b32_e32 v86, 0
	v_mov_b32_e32 v1, v85
	s_addc_u32 s25, s1, 0
	s_mov_b64 s[26:27], 1
	v_mov_b32_e32 v2, v86
.LBB0_2:                                ; =>This Inner Loop Header: Depth=1
	s_load_dwordx2 s[28:29], s[24:25], 0x0
                                        ; implicit-def: $vgpr3_vgpr4
	s_waitcnt lgkmcnt(0)
	v_or_b32_e32 v6, s29, v8
	v_cmp_ne_u64_e32 vcc, 0, v[5:6]
	s_and_saveexec_b64 s[0:1], vcc
	s_xor_b64 s[30:31], exec, s[0:1]
	s_cbranch_execz .LBB0_4
; %bb.3:                                ;   in Loop: Header=BB0_2 Depth=1
	v_cvt_f32_u32_e32 v3, s28
	v_cvt_f32_u32_e32 v4, s29
	s_sub_u32 s0, 0, s28
	s_subb_u32 s1, 0, s29
	v_mac_f32_e32 v3, 0x4f800000, v4
	v_rcp_f32_e32 v3, v3
	v_mul_f32_e32 v3, 0x5f7ffffc, v3
	v_mul_f32_e32 v4, 0x2f800000, v3
	v_trunc_f32_e32 v4, v4
	v_mac_f32_e32 v3, 0xcf800000, v4
	v_cvt_u32_f32_e32 v4, v4
	v_cvt_u32_f32_e32 v3, v3
	v_mul_lo_u32 v6, s0, v4
	v_mul_hi_u32 v9, s0, v3
	v_mul_lo_u32 v11, s1, v3
	v_mul_lo_u32 v10, s0, v3
	v_add_u32_e32 v6, v9, v6
	v_add_u32_e32 v6, v6, v11
	v_mul_hi_u32 v9, v3, v10
	v_mul_lo_u32 v11, v3, v6
	v_mul_hi_u32 v13, v3, v6
	v_mul_hi_u32 v12, v4, v10
	v_mul_lo_u32 v10, v4, v10
	v_mul_hi_u32 v14, v4, v6
	v_add_co_u32_e32 v9, vcc, v9, v11
	v_addc_co_u32_e32 v11, vcc, 0, v13, vcc
	v_mul_lo_u32 v6, v4, v6
	v_add_co_u32_e32 v9, vcc, v9, v10
	v_addc_co_u32_e32 v9, vcc, v11, v12, vcc
	v_addc_co_u32_e32 v10, vcc, 0, v14, vcc
	v_add_co_u32_e32 v6, vcc, v9, v6
	v_addc_co_u32_e32 v9, vcc, 0, v10, vcc
	v_add_co_u32_e32 v3, vcc, v3, v6
	v_addc_co_u32_e32 v4, vcc, v4, v9, vcc
	v_mul_lo_u32 v6, s0, v4
	v_mul_hi_u32 v9, s0, v3
	v_mul_lo_u32 v10, s1, v3
	v_mul_lo_u32 v11, s0, v3
	v_add_u32_e32 v6, v9, v6
	v_add_u32_e32 v6, v6, v10
	v_mul_lo_u32 v12, v3, v6
	v_mul_hi_u32 v13, v3, v11
	v_mul_hi_u32 v14, v3, v6
	;; [unrolled: 1-line block ×3, first 2 shown]
	v_mul_lo_u32 v11, v4, v11
	v_mul_hi_u32 v9, v4, v6
	v_add_co_u32_e32 v12, vcc, v13, v12
	v_addc_co_u32_e32 v13, vcc, 0, v14, vcc
	v_mul_lo_u32 v6, v4, v6
	v_add_co_u32_e32 v11, vcc, v12, v11
	v_addc_co_u32_e32 v10, vcc, v13, v10, vcc
	v_addc_co_u32_e32 v9, vcc, 0, v9, vcc
	v_add_co_u32_e32 v6, vcc, v10, v6
	v_addc_co_u32_e32 v9, vcc, 0, v9, vcc
	v_add_co_u32_e32 v6, vcc, v3, v6
	v_addc_co_u32_e32 v9, vcc, v4, v9, vcc
	v_mad_u64_u32 v[3:4], s[0:1], v7, v9, 0
	v_mul_hi_u32 v10, v7, v6
	v_add_co_u32_e32 v11, vcc, v10, v3
	v_addc_co_u32_e32 v12, vcc, 0, v4, vcc
	v_mad_u64_u32 v[3:4], s[0:1], v8, v6, 0
	v_mad_u64_u32 v[9:10], s[0:1], v8, v9, 0
	v_add_co_u32_e32 v3, vcc, v11, v3
	v_addc_co_u32_e32 v3, vcc, v12, v4, vcc
	v_addc_co_u32_e32 v4, vcc, 0, v10, vcc
	v_add_co_u32_e32 v6, vcc, v3, v9
	v_addc_co_u32_e32 v9, vcc, 0, v4, vcc
	v_mul_lo_u32 v10, s29, v6
	v_mul_lo_u32 v11, s28, v9
	v_mad_u64_u32 v[3:4], s[0:1], s28, v6, 0
	v_add3_u32 v4, v4, v11, v10
	v_sub_u32_e32 v10, v8, v4
	v_mov_b32_e32 v11, s29
	v_sub_co_u32_e32 v3, vcc, v7, v3
	v_subb_co_u32_e64 v10, s[0:1], v10, v11, vcc
	v_subrev_co_u32_e64 v11, s[0:1], s28, v3
	v_subbrev_co_u32_e64 v10, s[0:1], 0, v10, s[0:1]
	v_cmp_le_u32_e64 s[0:1], s29, v10
	v_cndmask_b32_e64 v12, 0, -1, s[0:1]
	v_cmp_le_u32_e64 s[0:1], s28, v11
	v_cndmask_b32_e64 v11, 0, -1, s[0:1]
	v_cmp_eq_u32_e64 s[0:1], s29, v10
	v_cndmask_b32_e64 v10, v12, v11, s[0:1]
	v_add_co_u32_e64 v11, s[0:1], 2, v6
	v_addc_co_u32_e64 v12, s[0:1], 0, v9, s[0:1]
	v_add_co_u32_e64 v13, s[0:1], 1, v6
	v_addc_co_u32_e64 v14, s[0:1], 0, v9, s[0:1]
	v_subb_co_u32_e32 v4, vcc, v8, v4, vcc
	v_cmp_ne_u32_e64 s[0:1], 0, v10
	v_cmp_le_u32_e32 vcc, s29, v4
	v_cndmask_b32_e64 v10, v14, v12, s[0:1]
	v_cndmask_b32_e64 v12, 0, -1, vcc
	v_cmp_le_u32_e32 vcc, s28, v3
	v_cndmask_b32_e64 v3, 0, -1, vcc
	v_cmp_eq_u32_e32 vcc, s29, v4
	v_cndmask_b32_e32 v3, v12, v3, vcc
	v_cmp_ne_u32_e32 vcc, 0, v3
	v_cndmask_b32_e64 v3, v13, v11, s[0:1]
	v_cndmask_b32_e32 v4, v9, v10, vcc
	v_cndmask_b32_e32 v3, v6, v3, vcc
.LBB0_4:                                ;   in Loop: Header=BB0_2 Depth=1
	s_andn2_saveexec_b64 s[0:1], s[30:31]
	s_cbranch_execz .LBB0_6
; %bb.5:                                ;   in Loop: Header=BB0_2 Depth=1
	v_cvt_f32_u32_e32 v3, s28
	s_sub_i32 s30, 0, s28
	v_rcp_iflag_f32_e32 v3, v3
	v_mul_f32_e32 v3, 0x4f7ffffe, v3
	v_cvt_u32_f32_e32 v3, v3
	v_mul_lo_u32 v4, s30, v3
	v_mul_hi_u32 v4, v3, v4
	v_add_u32_e32 v3, v3, v4
	v_mul_hi_u32 v3, v7, v3
	v_mul_lo_u32 v4, v3, s28
	v_add_u32_e32 v6, 1, v3
	v_sub_u32_e32 v4, v7, v4
	v_subrev_u32_e32 v9, s28, v4
	v_cmp_le_u32_e32 vcc, s28, v4
	v_cndmask_b32_e32 v4, v4, v9, vcc
	v_cndmask_b32_e32 v3, v3, v6, vcc
	v_add_u32_e32 v6, 1, v3
	v_cmp_le_u32_e32 vcc, s28, v4
	v_cndmask_b32_e32 v3, v3, v6, vcc
	v_mov_b32_e32 v4, v5
.LBB0_6:                                ;   in Loop: Header=BB0_2 Depth=1
	s_or_b64 exec, exec, s[0:1]
	v_mul_lo_u32 v6, v4, s28
	v_mul_lo_u32 v11, v3, s29
	v_mad_u64_u32 v[9:10], s[0:1], v3, s28, 0
	s_load_dwordx2 s[0:1], s[22:23], 0x0
	s_load_dwordx2 s[28:29], s[6:7], 0x0
	v_add3_u32 v6, v10, v11, v6
	v_sub_co_u32_e32 v7, vcc, v7, v9
	v_subb_co_u32_e32 v6, vcc, v8, v6, vcc
	s_waitcnt lgkmcnt(0)
	v_mul_lo_u32 v8, s0, v6
	v_mul_lo_u32 v9, s1, v7
	v_mad_u64_u32 v[85:86], s[0:1], s0, v7, v[85:86]
	v_mul_lo_u32 v6, s28, v6
	v_mul_lo_u32 v10, s29, v7
	v_mad_u64_u32 v[1:2], s[0:1], s28, v7, v[1:2]
	s_add_u32 s26, s26, 1
	s_addc_u32 s27, s27, 0
	s_add_u32 s6, s6, 8
	v_add3_u32 v2, v10, v2, v6
	s_addc_u32 s7, s7, 0
	v_mov_b32_e32 v6, s14
	s_add_u32 s22, s22, 8
	v_mov_b32_e32 v7, s15
	s_addc_u32 s23, s23, 0
	v_cmp_ge_u64_e32 vcc, s[26:27], v[6:7]
	s_add_u32 s24, s24, 8
	v_add3_u32 v86, v9, v86, v8
	s_addc_u32 s25, s25, 0
	s_cbranch_vccnz .LBB0_9
; %bb.7:                                ;   in Loop: Header=BB0_2 Depth=1
	v_mov_b32_e32 v8, v4
	v_mov_b32_e32 v7, v3
	s_branch .LBB0_2
.LBB0_8:
	v_mov_b32_e32 v1, v85
	v_mov_b32_e32 v3, v7
	;; [unrolled: 1-line block ×4, first 2 shown]
.LBB0_9:
	s_load_dwordx2 s[0:1], s[4:5], 0x28
	s_lshl_b64 s[14:15], s[14:15], 3
	s_add_u32 s4, s18, s14
	s_addc_u32 s5, s19, s15
                                        ; implicit-def: $vgpr87
                                        ; implicit-def: $vgpr88
                                        ; implicit-def: $vgpr89
	s_waitcnt lgkmcnt(0)
	v_cmp_gt_u64_e32 vcc, s[0:1], v[3:4]
	v_cmp_le_u64_e64 s[0:1], s[0:1], v[3:4]
	s_and_saveexec_b64 s[6:7], s[0:1]
	s_xor_b64 s[0:1], exec, s[6:7]
; %bb.10:
	s_mov_b32 s6, 0x4444445
	v_mul_hi_u32 v5, v0, s6
                                        ; implicit-def: $vgpr85_vgpr86
	v_mul_u32_u24_e32 v5, 60, v5
	v_sub_u32_e32 v87, v0, v5
	v_add_u32_e32 v88, 60, v87
	v_add_u32_e32 v89, 0x78, v87
                                        ; implicit-def: $vgpr0
; %bb.11:
	s_or_saveexec_b64 s[6:7], s[0:1]
	s_load_dwordx2 s[4:5], s[4:5], 0x0
                                        ; implicit-def: $vgpr48
                                        ; implicit-def: $vgpr60
                                        ; implicit-def: $vgpr40
                                        ; implicit-def: $vgpr44
                                        ; implicit-def: $vgpr36
                                        ; implicit-def: $vgpr42
                                        ; implicit-def: $vgpr10
                                        ; implicit-def: $vgpr12
                                        ; implicit-def: $vgpr8
                                        ; implicit-def: $vgpr6
                                        ; implicit-def: $vgpr22
                                        ; implicit-def: $vgpr28
                                        ; implicit-def: $vgpr18
                                        ; implicit-def: $vgpr26
                                        ; implicit-def: $vgpr20
                                        ; implicit-def: $vgpr32
                                        ; implicit-def: $vgpr24
                                        ; implicit-def: $vgpr30
                                        ; implicit-def: $vgpr16
                                        ; implicit-def: $vgpr14
                                        ; implicit-def: $vgpr54
                                        ; implicit-def: $vgpr64
                                        ; implicit-def: $vgpr56
                                        ; implicit-def: $vgpr62
                                        ; implicit-def: $vgpr58
                                        ; implicit-def: $vgpr52
                                        ; implicit-def: $vgpr46
                                        ; implicit-def: $vgpr50
                                        ; implicit-def: $vgpr38
                                        ; implicit-def: $vgpr34
                                        ; implicit-def: $vgpr70
                                        ; implicit-def: $vgpr80
                                        ; implicit-def: $vgpr72
                                        ; implicit-def: $vgpr78
                                        ; implicit-def: $vgpr74
                                        ; implicit-def: $vgpr84
                                        ; implicit-def: $vgpr76
                                        ; implicit-def: $vgpr82
                                        ; implicit-def: $vgpr68
                                        ; implicit-def: $vgpr66
	s_xor_b64 exec, exec, s[6:7]
	s_cbranch_execz .LBB0_15
; %bb.12:
	s_add_u32 s0, s16, s14
	s_mov_b32 s14, 0x4444445
	v_mul_hi_u32 v5, v0, s14
	s_addc_u32 s1, s17, s15
	s_load_dwordx2 s[0:1], s[0:1], 0x0
                                        ; implicit-def: $vgpr47
	v_mul_u32_u24_e32 v5, 60, v5
	v_sub_u32_e32 v87, v0, v5
	v_mad_u64_u32 v[5:6], s[14:15], s20, v87, 0
	s_waitcnt lgkmcnt(0)
	v_mul_lo_u32 v11, s1, v3
	v_mul_lo_u32 v12, s0, v4
	v_mad_u64_u32 v[7:8], s[0:1], s0, v3, 0
	v_mov_b32_e32 v0, v6
	v_mad_u64_u32 v[9:10], s[0:1], s21, v87, v[0:1]
	v_add3_u32 v8, v8, v12, v11
	v_lshlrev_b64 v[7:8], 3, v[7:8]
	v_mov_b32_e32 v0, s9
	v_add_co_u32_e64 v11, s[0:1], s8, v7
	v_add_u32_e32 v13, 0xd8, v87
	v_mov_b32_e32 v6, v9
	v_addc_co_u32_e64 v12, s[0:1], v0, v8, s[0:1]
	v_mad_u64_u32 v[9:10], s[0:1], s20, v13, 0
	v_lshlrev_b64 v[7:8], 3, v[85:86]
	v_lshlrev_b64 v[5:6], 3, v[5:6]
	v_add_co_u32_e64 v0, s[0:1], v11, v7
	v_mov_b32_e32 v7, v10
	v_addc_co_u32_e64 v48, s[0:1], v12, v8, s[0:1]
	v_mad_u64_u32 v[7:8], s[0:1], s21, v13, v[7:8]
	v_add_u32_e32 v13, 0x1b0, v87
	v_mad_u64_u32 v[11:12], s[0:1], s20, v13, 0
	v_mov_b32_e32 v10, v7
	v_add_co_u32_e64 v5, s[0:1], v0, v5
	v_lshlrev_b64 v[7:8], 3, v[9:10]
	v_mov_b32_e32 v9, v12
	v_addc_co_u32_e64 v6, s[0:1], v48, v6, s[0:1]
	v_mad_u64_u32 v[9:10], s[0:1], s21, v13, v[9:10]
	v_add_u32_e32 v15, 0x288, v87
	v_mad_u64_u32 v[13:14], s[0:1], s20, v15, 0
	v_mov_b32_e32 v12, v9
	v_add_co_u32_e64 v7, s[0:1], v0, v7
	v_lshlrev_b64 v[9:10], 3, v[11:12]
	;; [unrolled: 8-line block ×6, first 2 shown]
	v_mov_b32_e32 v19, v22
	v_addc_co_u32_e64 v16, s[0:1], v48, v16, s[0:1]
	v_mad_u64_u32 v[19:20], s[0:1], s21, v23, v[19:20]
	v_or_b32_e32 v25, 0x6c0, v87
	v_mad_u64_u32 v[23:24], s[0:1], s20, v25, 0
	v_mov_b32_e32 v22, v19
	v_add_co_u32_e64 v17, s[0:1], v0, v17
	v_lshlrev_b64 v[19:20], 3, v[21:22]
	v_mov_b32_e32 v21, v24
	v_addc_co_u32_e64 v18, s[0:1], v48, v18, s[0:1]
	v_mad_u64_u32 v[21:22], s[0:1], s21, v25, v[21:22]
	v_add_u32_e32 v27, 0x798, v87
	v_mad_u64_u32 v[25:26], s[0:1], s20, v27, 0
	v_mov_b32_e32 v24, v21
	v_add_co_u32_e64 v19, s[0:1], v0, v19
	v_lshlrev_b64 v[21:22], 3, v[23:24]
	v_mov_b32_e32 v23, v26
	v_addc_co_u32_e64 v20, s[0:1], v48, v20, s[0:1]
	v_mad_u64_u32 v[23:24], s[0:1], s21, v27, v[23:24]
	v_add_u32_e32 v88, 60, v87
	;; [unrolled: 8-line block ×8, first 2 shown]
	v_mad_u64_u32 v[39:40], s[0:1], s20, v36, 0
	v_add_co_u32_e64 v41, s[0:1], v0, v33
	v_mov_b32_e32 v38, v35
	v_mov_b32_e32 v35, v40
	v_addc_co_u32_e64 v42, s[0:1], v48, v34, s[0:1]
	v_lshlrev_b64 v[33:34], 3, v[37:38]
	v_mad_u64_u32 v[35:36], s[0:1], s21, v36, v[35:36]
	v_add_u32_e32 v38, 0x624, v87
	v_mad_u64_u32 v[36:37], s[0:1], s20, v38, 0
	v_add_co_u32_e64 v43, s[0:1], v0, v33
	v_mov_b32_e32 v40, v35
	v_mov_b32_e32 v35, v37
	v_addc_co_u32_e64 v44, s[0:1], v48, v34, s[0:1]
	v_lshlrev_b64 v[33:34], 3, v[39:40]
	v_mad_u64_u32 v[37:38], s[0:1], s21, v38, v[35:36]
	v_add_u32_e32 v40, 0x6fc, v87
	v_mad_u64_u32 v[38:39], s[0:1], s20, v40, 0
	v_add_co_u32_e64 v59, s[0:1], v0, v33
	v_mov_b32_e32 v35, v39
	v_addc_co_u32_e64 v60, s[0:1], v48, v34, s[0:1]
	v_lshlrev_b64 v[33:34], 3, v[36:37]
	v_mad_u64_u32 v[35:36], s[0:1], s21, v40, v[35:36]
	v_add_u32_e32 v40, 0x7d4, v87
	v_mad_u64_u32 v[36:37], s[0:1], s20, v40, 0
	v_add_co_u32_e64 v85, s[0:1], v0, v33
	v_mov_b32_e32 v39, v35
	v_mov_b32_e32 v35, v37
	v_addc_co_u32_e64 v86, s[0:1], v48, v34, s[0:1]
	v_lshlrev_b64 v[33:34], 3, v[38:39]
	v_mad_u64_u32 v[37:38], s[0:1], s21, v40, v[35:36]
	v_add_u32_e32 v89, 0x78, v87
	v_mad_u64_u32 v[38:39], s[0:1], s20, v89, 0
	v_add_co_u32_e64 v90, s[0:1], v0, v33
	;; [unrolled: 15-line block ×3, first 2 shown]
	v_mov_b32_e32 v35, v39
	v_addc_co_u32_e64 v95, s[0:1], v48, v34, s[0:1]
	v_lshlrev_b64 v[33:34], 3, v[36:37]
	v_mad_u64_u32 v[35:36], s[0:1], s21, v40, v[35:36]
	v_or_b32_e32 v40, 0x300, v87
	v_mad_u64_u32 v[36:37], s[0:1], s20, v40, 0
	v_add_co_u32_e64 v96, s[0:1], v0, v33
	v_mov_b32_e32 v39, v35
	v_mov_b32_e32 v35, v37
	v_addc_co_u32_e64 v97, s[0:1], v48, v34, s[0:1]
	v_lshlrev_b64 v[33:34], 3, v[38:39]
	v_mad_u64_u32 v[37:38], s[0:1], s21, v40, v[35:36]
	v_add_u32_e32 v40, 0x3d8, v87
	v_mad_u64_u32 v[38:39], s[0:1], s20, v40, 0
	v_add_co_u32_e64 v98, s[0:1], v0, v33
	v_mov_b32_e32 v35, v39
	v_addc_co_u32_e64 v99, s[0:1], v48, v34, s[0:1]
	v_lshlrev_b64 v[33:34], 3, v[36:37]
	v_mad_u64_u32 v[35:36], s[0:1], s21, v40, v[35:36]
	v_add_u32_e32 v40, 0x4b0, v87
	v_mad_u64_u32 v[36:37], s[0:1], s20, v40, 0
	v_add_co_u32_e64 v100, s[0:1], v0, v33
	v_mov_b32_e32 v39, v35
	v_mov_b32_e32 v35, v37
	v_addc_co_u32_e64 v101, s[0:1], v48, v34, s[0:1]
	v_lshlrev_b64 v[33:34], 3, v[38:39]
	v_mad_u64_u32 v[37:38], s[0:1], s21, v40, v[35:36]
	v_add_u32_e32 v40, 0x588, v87
	v_mad_u64_u32 v[38:39], s[0:1], s20, v40, 0
	v_add_co_u32_e64 v102, s[0:1], v0, v33
	v_mov_b32_e32 v35, v39
	v_addc_co_u32_e64 v103, s[0:1], v48, v34, s[0:1]
	v_lshlrev_b64 v[33:34], 3, v[36:37]
	v_mad_u64_u32 v[35:36], s[0:1], s21, v40, v[35:36]
	v_add_u32_e32 v40, 0x660, v87
	;; [unrolled: 15-line block ×3, first 2 shown]
	v_mad_u64_u32 v[36:37], s[0:1], s20, v40, 0
	v_add_co_u32_e64 v108, s[0:1], v0, v33
	v_mov_b32_e32 v39, v35
	v_mov_b32_e32 v35, v37
	v_addc_co_u32_e64 v109, s[0:1], v48, v34, s[0:1]
	v_lshlrev_b64 v[33:34], 3, v[38:39]
	v_mad_u64_u32 v[37:38], s[0:1], s21, v40, v[35:36]
	v_add_co_u32_e64 v39, s[0:1], v0, v33
	v_addc_co_u32_e64 v40, s[0:1], v48, v34, s[0:1]
	v_lshlrev_b64 v[33:34], 3, v[36:37]
	v_add_co_u32_e64 v35, s[0:1], v0, v33
	v_addc_co_u32_e64 v36, s[0:1], v48, v34, s[0:1]
	global_load_dwordx2 v[65:66], v[5:6], off
	global_load_dwordx2 v[67:68], v[7:8], off
	;; [unrolled: 1-line block ×15, first 2 shown]
                                        ; kill: killed $vgpr41 killed $vgpr42
                                        ; kill: killed $vgpr17 killed $vgpr18
                                        ; kill: killed $vgpr7 killed $vgpr8
                                        ; kill: killed $vgpr27 killed $vgpr28
                                        ; kill: killed $vgpr21 killed $vgpr22
                                        ; kill: killed $vgpr11 killed $vgpr12
                                        ; kill: killed $vgpr31 killed $vgpr32
                                        ; kill: killed $vgpr15 killed $vgpr16
                                        ; kill: killed $vgpr5 killed $vgpr6
                                        ; kill: killed $vgpr25 killed $vgpr26
                                        ; kill: killed $vgpr19 killed $vgpr20
                                        ; kill: killed $vgpr9 killed $vgpr10
                                        ; kill: killed $vgpr29 killed $vgpr30
                                        ; kill: killed $vgpr23 killed $vgpr24
                                        ; kill: killed $vgpr13 killed $vgpr14
	global_load_dwordx2 v[57:58], v[43:44], off
	global_load_dwordx2 v[61:62], v[59:60], off
	;; [unrolled: 1-line block ×15, first 2 shown]
	v_cmp_gt_u32_e64 s[0:1], 36, v87
                                        ; implicit-def: $vgpr5
                                        ; implicit-def: $vgpr7
                                        ; implicit-def: $vgpr11
                                        ; implicit-def: $vgpr9
                                        ; implicit-def: $vgpr41
                                        ; implicit-def: $vgpr35
                                        ; implicit-def: $vgpr43
                                        ; implicit-def: $vgpr39
                                        ; implicit-def: $vgpr59
	s_and_saveexec_b64 s[8:9], s[0:1]
	s_cbranch_execz .LBB0_14
; %bb.13:
	v_add_u32_e32 v9, 0xb4, v87
	v_add_u32_e32 v11, 0x18c, v87
	v_mad_u64_u32 v[5:6], s[0:1], s20, v9, 0
	v_mad_u64_u32 v[7:8], s[0:1], s20, v11, 0
	v_add_u32_e32 v47, 0x4ec, v87
	v_add_u32_e32 v99, 0x84c, v87
	v_mad_u64_u32 v[9:10], s[0:1], s21, v9, v[6:7]
	v_mov_b32_e32 v6, v9
	v_mad_u64_u32 v[8:9], s[0:1], s21, v11, v[8:9]
	v_add_u32_e32 v11, 0x264, v87
	v_mad_u64_u32 v[9:10], s[0:1], s20, v11, 0
	v_lshlrev_b64 v[5:6], 3, v[5:6]
	v_add_co_u32_e64 v35, s[0:1], v0, v5
	v_addc_co_u32_e64 v36, s[0:1], v48, v6, s[0:1]
	v_lshlrev_b64 v[5:6], 3, v[7:8]
	v_mov_b32_e32 v7, v10
	v_mad_u64_u32 v[7:8], s[0:1], s21, v11, v[7:8]
	v_add_u32_e32 v8, 0x33c, v87
	v_mad_u64_u32 v[11:12], s[0:1], s20, v8, 0
	v_add_co_u32_e64 v39, s[0:1], v0, v5
	v_mov_b32_e32 v10, v7
	v_mov_b32_e32 v7, v12
	v_addc_co_u32_e64 v40, s[0:1], v48, v6, s[0:1]
	v_mad_u64_u32 v[7:8], s[0:1], s21, v8, v[7:8]
	v_lshlrev_b64 v[5:6], 3, v[9:10]
	v_add_co_u32_e64 v41, s[0:1], v0, v5
	v_mov_b32_e32 v12, v7
	v_addc_co_u32_e64 v42, s[0:1], v48, v6, s[0:1]
	v_lshlrev_b64 v[5:6], 3, v[11:12]
	v_add_u32_e32 v7, 0x414, v87
	v_mad_u64_u32 v[43:44], s[0:1], s20, v7, 0
	v_add_co_u32_e64 v59, s[0:1], v0, v5
	v_addc_co_u32_e64 v60, s[0:1], v48, v6, s[0:1]
	v_mad_u64_u32 v[90:91], s[0:1], s20, v47, 0
	v_mov_b32_e32 v5, v44
	v_mad_u64_u32 v[85:86], s[0:1], s21, v7, v[5:6]
	global_load_dwordx2 v[5:6], v[35:36], off
	global_load_dwordx2 v[7:8], v[39:40], off
	;; [unrolled: 1-line block ×4, first 2 shown]
	v_mov_b32_e32 v39, v91
	v_mad_u64_u32 v[39:40], s[0:1], s21, v47, v[39:40]
	v_add_u32_e32 v42, 0x5c4, v87
	v_mad_u64_u32 v[40:41], s[0:1], s20, v42, 0
	v_mov_b32_e32 v44, v85
	v_lshlrev_b64 v[35:36], 3, v[43:44]
	v_mov_b32_e32 v91, v39
	v_add_co_u32_e64 v59, s[0:1], v0, v35
	v_mov_b32_e32 v39, v41
	v_addc_co_u32_e64 v60, s[0:1], v48, v36, s[0:1]
	v_mad_u64_u32 v[41:42], s[0:1], s21, v42, v[39:40]
	v_add_u32_e32 v44, 0x69c, v87
	v_mad_u64_u32 v[42:43], s[0:1], s20, v44, 0
	v_lshlrev_b64 v[35:36], 3, v[90:91]
	v_add_co_u32_e64 v85, s[0:1], v0, v35
	v_mov_b32_e32 v39, v43
	v_addc_co_u32_e64 v86, s[0:1], v48, v36, s[0:1]
	v_lshlrev_b64 v[35:36], 3, v[40:41]
	v_mad_u64_u32 v[39:40], s[0:1], s21, v44, v[39:40]
	v_add_co_u32_e64 v90, s[0:1], v0, v35
	v_mov_b32_e32 v43, v39
	v_add_u32_e32 v39, 0x774, v87
	v_addc_co_u32_e64 v91, s[0:1], v48, v36, s[0:1]
	v_mad_u64_u32 v[92:93], s[0:1], s20, v39, 0
	v_lshlrev_b64 v[35:36], 3, v[42:43]
	v_add_co_u32_e64 v94, s[0:1], v0, v35
	v_mov_b32_e32 v35, v93
	v_addc_co_u32_e64 v95, s[0:1], v48, v36, s[0:1]
	v_mad_u64_u32 v[96:97], s[0:1], s21, v39, v[35:36]
	v_mad_u64_u32 v[97:98], s[0:1], s20, v99, 0
	global_load_dwordx2 v[41:42], v[59:60], off
	global_load_dwordx2 v[35:36], v[85:86], off
	;; [unrolled: 1-line block ×4, first 2 shown]
	v_mov_b32_e32 v93, v96
	v_mov_b32_e32 v47, v98
	v_mad_u64_u32 v[85:86], s[0:1], s21, v99, v[47:48]
	v_lshlrev_b64 v[59:60], 3, v[92:93]
	v_add_co_u32_e64 v90, s[0:1], v0, v59
	v_mov_b32_e32 v98, v85
	v_addc_co_u32_e64 v91, s[0:1], v48, v60, s[0:1]
	v_lshlrev_b64 v[59:60], 3, v[97:98]
	v_add_co_u32_e64 v85, s[0:1], v0, v59
	v_addc_co_u32_e64 v86, s[0:1], v48, v60, s[0:1]
	global_load_dwordx2 v[59:60], v[90:91], off
	global_load_dwordx2 v[47:48], v[85:86], off
.LBB0_14:
	s_or_b64 exec, exec, s[8:9]
.LBB0_15:
	s_or_b64 exec, exec, s[6:7]
	s_waitcnt vmcnt(27)
	v_add_f32_e32 v0, v81, v65
	s_waitcnt vmcnt(25)
	v_add_f32_e32 v0, v83, v0
	;; [unrolled: 2-line block ×4, first 2 shown]
	v_add_f32_e32 v0, v77, v83
	v_fma_f32 v93, -0.5, v0, v65
	v_sub_f32_e32 v0, v82, v80
	v_mov_b32_e32 v94, v93
	v_fmac_f32_e32 v94, 0xbf737871, v0
	v_sub_f32_e32 v85, v84, v78
	v_sub_f32_e32 v86, v81, v83
	;; [unrolled: 1-line block ×3, first 2 shown]
	v_fmac_f32_e32 v93, 0x3f737871, v0
	v_fmac_f32_e32 v94, 0xbf167918, v85
	v_add_f32_e32 v86, v90, v86
	v_fmac_f32_e32 v93, 0x3f167918, v85
	v_fmac_f32_e32 v94, 0x3e9e377a, v86
	v_fmac_f32_e32 v93, 0x3e9e377a, v86
	v_add_f32_e32 v86, v79, v81
	v_fmac_f32_e32 v65, -0.5, v86
	v_mov_b32_e32 v95, v65
	v_fmac_f32_e32 v95, 0x3f737871, v85
	v_fmac_f32_e32 v65, 0xbf737871, v85
	;; [unrolled: 1-line block ×4, first 2 shown]
	v_add_f32_e32 v0, v75, v67
	v_add_f32_e32 v0, v73, v0
	;; [unrolled: 1-line block ×3, first 2 shown]
	s_waitcnt vmcnt(20)
	v_add_f32_e32 v96, v69, v0
	v_add_f32_e32 v0, v71, v73
	v_sub_f32_e32 v86, v83, v81
	v_sub_f32_e32 v90, v77, v79
	v_fma_f32 v0, -0.5, v0, v67
	v_add_f32_e32 v86, v90, v86
	v_sub_f32_e32 v90, v76, v70
	v_mov_b32_e32 v85, v0
	v_fmac_f32_e32 v95, 0x3e9e377a, v86
	v_fmac_f32_e32 v65, 0x3e9e377a, v86
	;; [unrolled: 1-line block ×3, first 2 shown]
	v_sub_f32_e32 v91, v74, v72
	v_sub_f32_e32 v86, v75, v73
	;; [unrolled: 1-line block ×3, first 2 shown]
	v_fmac_f32_e32 v0, 0x3f737871, v90
	v_fmac_f32_e32 v85, 0xbf167918, v91
	v_add_f32_e32 v86, v97, v86
	v_fmac_f32_e32 v0, 0x3f167918, v91
	v_fmac_f32_e32 v85, 0x3e9e377a, v86
	;; [unrolled: 1-line block ×3, first 2 shown]
	v_add_f32_e32 v86, v69, v75
	v_fmac_f32_e32 v67, -0.5, v86
	v_mov_b32_e32 v86, v67
	v_fmac_f32_e32 v86, 0x3f737871, v91
	v_fmac_f32_e32 v67, 0xbf737871, v91
	;; [unrolled: 1-line block ×4, first 2 shown]
	v_add_f32_e32 v90, v72, v74
	v_fma_f32 v90, -0.5, v90, v68
	v_sub_f32_e32 v98, v71, v69
	v_sub_f32_e32 v69, v75, v69
	v_mov_b32_e32 v91, v90
	v_sub_f32_e32 v97, v73, v75
	v_fmac_f32_e32 v91, 0x3f737871, v69
	v_sub_f32_e32 v75, v73, v71
	v_sub_f32_e32 v71, v76, v74
	;; [unrolled: 1-line block ×3, first 2 shown]
	v_fmac_f32_e32 v90, 0xbf737871, v69
	v_fmac_f32_e32 v91, 0x3f167918, v75
	v_add_f32_e32 v71, v73, v71
	v_fmac_f32_e32 v90, 0xbf167918, v75
	v_fmac_f32_e32 v91, 0x3e9e377a, v71
	;; [unrolled: 1-line block ×3, first 2 shown]
	v_add_f32_e32 v71, v70, v76
	v_add_f32_e32 v97, v98, v97
	v_fma_f32 v71, -0.5, v71, v68
	v_fmac_f32_e32 v86, 0x3e9e377a, v97
	v_fmac_f32_e32 v67, 0x3e9e377a, v97
	v_mov_b32_e32 v73, v71
	v_sub_f32_e32 v97, v74, v76
	v_sub_f32_e32 v98, v72, v70
	v_fmac_f32_e32 v71, 0x3f737871, v75
	v_fmac_f32_e32 v73, 0xbf737871, v75
	v_add_f32_e32 v97, v98, v97
	v_fmac_f32_e32 v71, 0xbf167918, v69
	v_fmac_f32_e32 v73, 0x3f167918, v69
	;; [unrolled: 1-line block ×4, first 2 shown]
	v_mul_f32_e32 v97, 0xbf737871, v71
	v_fmac_f32_e32 v97, 0xbe9e377a, v67
	v_add_f32_e32 v101, v65, v97
	v_sub_f32_e32 v108, v65, v97
	s_waitcnt vmcnt(17)
	v_add_f32_e32 v65, v49, v33
	v_mul_f32_e32 v69, 0xbf167918, v91
	s_waitcnt vmcnt(15)
	v_add_f32_e32 v65, v51, v65
	v_fmac_f32_e32 v69, 0x3f4f1bbd, v85
	v_mul_f32_e32 v75, 0xbf737871, v73
	s_waitcnt vmcnt(13)
	v_add_f32_e32 v65, v61, v65
	v_add_f32_e32 v99, v94, v69
	v_fmac_f32_e32 v75, 0x3e9e377a, v86
	v_sub_f32_e32 v106, v94, v69
	s_waitcnt vmcnt(11)
	v_add_f32_e32 v69, v63, v65
	v_add_f32_e32 v65, v61, v51
	v_add_f32_e32 v100, v95, v75
	v_mul_f32_e32 v104, 0xbf167918, v90
	v_sub_f32_e32 v107, v95, v75
	v_fma_f32 v75, -0.5, v65, v33
	v_fmac_f32_e32 v104, 0xbf4f1bbd, v0
	v_sub_f32_e32 v65, v50, v64
	v_mov_b32_e32 v95, v75
	v_add_f32_e32 v98, v96, v92
	v_add_f32_e32 v102, v93, v104
	v_sub_f32_e32 v103, v92, v96
	v_sub_f32_e32 v109, v93, v104
	v_fmac_f32_e32 v95, 0xbf737871, v65
	v_sub_f32_e32 v92, v52, v62
	v_sub_f32_e32 v93, v49, v51
	;; [unrolled: 1-line block ×3, first 2 shown]
	v_fmac_f32_e32 v75, 0x3f737871, v65
	v_fmac_f32_e32 v95, 0xbf167918, v92
	v_add_f32_e32 v93, v94, v93
	v_fmac_f32_e32 v75, 0x3f167918, v92
	v_fmac_f32_e32 v95, 0x3e9e377a, v93
	;; [unrolled: 1-line block ×3, first 2 shown]
	v_add_f32_e32 v93, v63, v49
	v_fmac_f32_e32 v33, -0.5, v93
	v_mov_b32_e32 v96, v33
	v_fmac_f32_e32 v96, 0x3f737871, v92
	v_fmac_f32_e32 v33, 0xbf737871, v92
	;; [unrolled: 1-line block ×4, first 2 shown]
	v_add_f32_e32 v65, v45, v37
	v_add_f32_e32 v65, v57, v65
	;; [unrolled: 1-line block ×3, first 2 shown]
	s_waitcnt vmcnt(10)
	v_add_f32_e32 v97, v53, v65
	v_add_f32_e32 v65, v55, v57
	v_sub_f32_e32 v93, v51, v49
	v_sub_f32_e32 v94, v61, v63
	v_fma_f32 v65, -0.5, v65, v37
	v_add_f32_e32 v93, v94, v93
	v_sub_f32_e32 v94, v46, v54
	v_mov_b32_e32 v92, v65
	v_fmac_f32_e32 v96, 0x3e9e377a, v93
	v_fmac_f32_e32 v33, 0x3e9e377a, v93
	;; [unrolled: 1-line block ×3, first 2 shown]
	v_sub_f32_e32 v104, v58, v56
	v_sub_f32_e32 v93, v45, v57
	;; [unrolled: 1-line block ×3, first 2 shown]
	v_fmac_f32_e32 v65, 0x3f737871, v94
	v_fmac_f32_e32 v92, 0xbf167918, v104
	v_add_f32_e32 v93, v105, v93
	v_fmac_f32_e32 v65, 0x3f167918, v104
	v_fmac_f32_e32 v92, 0x3e9e377a, v93
	;; [unrolled: 1-line block ×3, first 2 shown]
	v_add_f32_e32 v93, v53, v45
	v_fmac_f32_e32 v37, -0.5, v93
	v_mov_b32_e32 v93, v37
	v_fmac_f32_e32 v93, 0x3f737871, v104
	v_fmac_f32_e32 v37, 0xbf737871, v104
	;; [unrolled: 1-line block ×4, first 2 shown]
	v_add_f32_e32 v94, v56, v58
	v_fma_f32 v94, -0.5, v94, v38
	v_sub_f32_e32 v105, v57, v45
	v_sub_f32_e32 v104, v45, v53
	v_mov_b32_e32 v45, v94
	v_sub_f32_e32 v110, v55, v53
	v_fmac_f32_e32 v45, 0x3f737871, v104
	v_sub_f32_e32 v57, v57, v55
	v_sub_f32_e32 v53, v46, v58
	;; [unrolled: 1-line block ×3, first 2 shown]
	v_fmac_f32_e32 v94, 0xbf737871, v104
	v_fmac_f32_e32 v45, 0x3f167918, v57
	v_add_f32_e32 v53, v55, v53
	v_fmac_f32_e32 v94, 0xbf167918, v57
	v_fmac_f32_e32 v45, 0x3e9e377a, v53
	;; [unrolled: 1-line block ×3, first 2 shown]
	v_add_f32_e32 v53, v54, v46
	v_add_f32_e32 v105, v110, v105
	v_fma_f32 v53, -0.5, v53, v38
	v_fmac_f32_e32 v93, 0x3e9e377a, v105
	v_fmac_f32_e32 v37, 0x3e9e377a, v105
	v_mov_b32_e32 v55, v53
	v_sub_f32_e32 v105, v58, v46
	v_sub_f32_e32 v110, v56, v54
	v_fmac_f32_e32 v53, 0x3f737871, v57
	v_fmac_f32_e32 v55, 0xbf737871, v57
	v_add_f32_e32 v105, v110, v105
	v_fmac_f32_e32 v53, 0xbf167918, v104
	v_fmac_f32_e32 v55, 0x3f167918, v104
	v_fmac_f32_e32 v53, 0x3e9e377a, v105
	v_fmac_f32_e32 v55, 0x3e9e377a, v105
	v_mul_f32_e32 v105, 0xbf737871, v53
	v_fmac_f32_e32 v105, 0xbe9e377a, v37
	v_add_f32_e32 v113, v33, v105
	v_sub_f32_e32 v118, v33, v105
	s_waitcnt vmcnt(7)
	v_add_f32_e32 v33, v29, v13
	s_waitcnt vmcnt(5)
	v_add_f32_e32 v33, v31, v33
	v_mul_f32_e32 v119, 0xbf167918, v94
	s_waitcnt vmcnt(3)
	v_add_f32_e32 v33, v25, v33
	v_add_f32_e32 v110, v97, v69
	v_mul_f32_e32 v104, 0xbf737871, v55
	v_fmac_f32_e32 v119, 0xbf4f1bbd, v65
	v_sub_f32_e32 v115, v69, v97
	s_waitcnt vmcnt(1)
	v_add_f32_e32 v69, v27, v33
	v_add_f32_e32 v33, v25, v31
	v_mul_f32_e32 v57, 0xbf167918, v45
	v_fmac_f32_e32 v104, 0x3e9e377a, v93
	v_add_f32_e32 v114, v75, v119
	v_sub_f32_e32 v119, v75, v119
	v_fma_f32 v75, -0.5, v33, v13
	v_fmac_f32_e32 v57, 0x3f4f1bbd, v92
	v_add_f32_e32 v112, v96, v104
	v_sub_f32_e32 v117, v96, v104
	v_sub_f32_e32 v33, v30, v28
	v_mov_b32_e32 v96, v75
	v_add_f32_e32 v111, v95, v57
	v_sub_f32_e32 v116, v95, v57
	v_fmac_f32_e32 v96, 0xbf737871, v33
	v_sub_f32_e32 v57, v32, v26
	v_sub_f32_e32 v95, v29, v31
	;; [unrolled: 1-line block ×3, first 2 shown]
	v_fmac_f32_e32 v75, 0x3f737871, v33
	v_fmac_f32_e32 v96, 0xbf167918, v57
	v_add_f32_e32 v95, v97, v95
	v_fmac_f32_e32 v75, 0x3f167918, v57
	v_fmac_f32_e32 v96, 0x3e9e377a, v95
	;; [unrolled: 1-line block ×3, first 2 shown]
	v_add_f32_e32 v95, v27, v29
	v_fmac_f32_e32 v13, -0.5, v95
	v_mov_b32_e32 v104, v13
	v_fmac_f32_e32 v104, 0x3f737871, v57
	v_fmac_f32_e32 v13, 0xbf737871, v57
	;; [unrolled: 1-line block ×4, first 2 shown]
	v_add_f32_e32 v33, v23, v15
	v_add_f32_e32 v33, v19, v33
	;; [unrolled: 1-line block ×3, first 2 shown]
	s_waitcnt vmcnt(0)
	v_add_f32_e32 v124, v21, v33
	v_add_f32_e32 v33, v17, v19
	v_sub_f32_e32 v95, v31, v29
	v_sub_f32_e32 v97, v25, v27
	v_fma_f32 v33, -0.5, v33, v15
	v_add_f32_e32 v95, v97, v95
	v_sub_f32_e32 v97, v24, v22
	v_mov_b32_e32 v57, v33
	v_fmac_f32_e32 v104, 0x3e9e377a, v95
	v_fmac_f32_e32 v13, 0x3e9e377a, v95
	;; [unrolled: 1-line block ×3, first 2 shown]
	v_sub_f32_e32 v105, v20, v18
	v_sub_f32_e32 v95, v23, v19
	;; [unrolled: 1-line block ×3, first 2 shown]
	v_fmac_f32_e32 v33, 0x3f737871, v97
	v_fmac_f32_e32 v57, 0xbf167918, v105
	v_add_f32_e32 v95, v120, v95
	v_fmac_f32_e32 v33, 0x3f167918, v105
	v_fmac_f32_e32 v57, 0x3e9e377a, v95
	;; [unrolled: 1-line block ×3, first 2 shown]
	v_add_f32_e32 v95, v21, v23
	v_fmac_f32_e32 v15, -0.5, v95
	v_mov_b32_e32 v95, v15
	v_fmac_f32_e32 v95, 0x3f737871, v105
	v_fmac_f32_e32 v15, 0xbf737871, v105
	;; [unrolled: 1-line block ×4, first 2 shown]
	v_add_f32_e32 v97, v18, v20
	v_fma_f32 v97, -0.5, v97, v16
	v_sub_f32_e32 v120, v19, v23
	v_sub_f32_e32 v121, v17, v21
	;; [unrolled: 1-line block ×3, first 2 shown]
	v_mov_b32_e32 v21, v97
	v_fmac_f32_e32 v21, 0x3f737871, v23
	v_sub_f32_e32 v105, v19, v17
	v_sub_f32_e32 v17, v24, v20
	;; [unrolled: 1-line block ×3, first 2 shown]
	v_fmac_f32_e32 v97, 0xbf737871, v23
	v_fmac_f32_e32 v21, 0x3f167918, v105
	v_add_f32_e32 v17, v19, v17
	v_fmac_f32_e32 v97, 0xbf167918, v105
	v_fmac_f32_e32 v21, 0x3e9e377a, v17
	;; [unrolled: 1-line block ×3, first 2 shown]
	v_add_f32_e32 v17, v22, v24
	v_add_f32_e32 v120, v121, v120
	v_fma_f32 v17, -0.5, v17, v16
	v_fmac_f32_e32 v95, 0x3e9e377a, v120
	v_fmac_f32_e32 v15, 0x3e9e377a, v120
	v_mov_b32_e32 v19, v17
	v_sub_f32_e32 v120, v20, v24
	v_sub_f32_e32 v121, v18, v22
	v_fmac_f32_e32 v17, 0x3f737871, v105
	v_fmac_f32_e32 v19, 0xbf737871, v105
	v_add_f32_e32 v120, v121, v120
	v_fmac_f32_e32 v17, 0xbf167918, v23
	v_mul_u32_u24_e32 v105, 10, v87
	v_fmac_f32_e32 v17, 0x3e9e377a, v120
	v_lshl_add_u32 v105, v105, 2, 0
	ds_write2_b64 v105, v[98:99], v[100:101] offset1:1
	v_mul_f32_e32 v98, 0xbf737871, v17
	v_fmac_f32_e32 v19, 0x3f167918, v23
	v_mul_f32_e32 v23, 0xbf167918, v21
	v_fmac_f32_e32 v98, 0xbe9e377a, v15
	v_fmac_f32_e32 v23, 0x3f4f1bbd, v57
	v_add_f32_e32 v123, v13, v98
	v_sub_f32_e32 v128, v13, v98
	v_add_f32_e32 v13, v39, v35
	v_add_f32_e32 v121, v96, v23
	v_mul_f32_e32 v99, 0xbf167918, v97
	v_sub_f32_e32 v126, v96, v23
	v_fma_f32 v96, -0.5, v13, v7
	v_fmac_f32_e32 v99, 0xbf4f1bbd, v33
	v_sub_f32_e32 v13, v10, v48
	v_mov_b32_e32 v98, v96
	v_fmac_f32_e32 v19, 0x3e9e377a, v120
	v_add_f32_e32 v120, v124, v69
	v_sub_f32_e32 v125, v69, v124
	v_add_f32_e32 v124, v75, v99
	v_sub_f32_e32 v129, v75, v99
	v_fmac_f32_e32 v98, 0xbf737871, v13
	v_sub_f32_e32 v23, v36, v40
	v_sub_f32_e32 v69, v9, v35
	;; [unrolled: 1-line block ×3, first 2 shown]
	v_fmac_f32_e32 v96, 0x3f737871, v13
	v_fmac_f32_e32 v98, 0xbf167918, v23
	v_add_f32_e32 v69, v75, v69
	v_fmac_f32_e32 v96, 0x3f167918, v23
	v_fmac_f32_e32 v98, 0x3e9e377a, v69
	;; [unrolled: 1-line block ×3, first 2 shown]
	v_add_f32_e32 v69, v47, v9
	v_fma_f32 v99, -0.5, v69, v7
	v_mov_b32_e32 v100, v99
	v_fmac_f32_e32 v100, 0x3f737871, v23
	v_fmac_f32_e32 v99, 0xbf737871, v23
	v_sub_f32_e32 v69, v35, v9
	v_sub_f32_e32 v75, v39, v47
	v_fmac_f32_e32 v100, 0xbf167918, v13
	v_fmac_f32_e32 v99, 0x3f167918, v13
	v_add_f32_e32 v13, v40, v36
	v_add_f32_e32 v69, v75, v69
	v_fma_f32 v101, -0.5, v13, v8
	ds_write2_b64 v105, v[102:103], v[106:107] offset0:2 offset1:3
	v_fmac_f32_e32 v100, 0x3e9e377a, v69
	v_fmac_f32_e32 v99, 0x3e9e377a, v69
	v_sub_f32_e32 v13, v9, v47
	v_mov_b32_e32 v102, v101
	v_sub_f32_e32 v23, v10, v36
	v_sub_f32_e32 v69, v48, v40
	v_fmac_f32_e32 v102, 0x3f737871, v13
	v_add_f32_e32 v23, v69, v23
	v_sub_f32_e32 v69, v35, v39
	v_fmac_f32_e32 v101, 0xbf737871, v13
	v_fmac_f32_e32 v102, 0x3f167918, v69
	;; [unrolled: 1-line block ×5, first 2 shown]
	v_sub_f32_e32 v23, v36, v10
	v_sub_f32_e32 v75, v40, v48
	v_mul_f32_e32 v127, 0xbf737871, v19
	v_add_f32_e32 v23, v75, v23
	v_add_f32_e32 v75, v48, v10
	v_fmac_f32_e32 v127, 0x3e9e377a, v95
	v_fma_f32 v103, -0.5, v75, v8
	v_add_f32_e32 v122, v104, v127
	v_sub_f32_e32 v127, v104, v127
	v_mov_b32_e32 v104, v103
	v_fmac_f32_e32 v104, 0xbf737871, v69
	v_fmac_f32_e32 v103, 0x3f737871, v69
	;; [unrolled: 1-line block ×4, first 2 shown]
	v_mul_i32_i24_e32 v13, 10, v88
	v_lshl_add_u32 v69, v13, 2, 0
	v_mul_i32_i24_e32 v13, 10, v89
	s_mov_b32 s9, 0x3f737871
	s_mov_b32 s8, 0x3f167918
	v_fmac_f32_e32 v104, 0x3e9e377a, v23
	v_fmac_f32_e32 v103, 0x3e9e377a, v23
	v_lshl_add_u32 v75, v13, 2, 0
	v_cmp_gt_u32_e64 s[0:1], 36, v87
	ds_write_b64 v105, v[108:109] offset:32
	ds_write2_b64 v69, v[110:111], v[112:113] offset1:1
	ds_write2_b64 v69, v[114:115], v[116:117] offset0:2 offset1:3
	ds_write_b64 v69, v[118:119] offset:32
	ds_write2_b64 v75, v[120:121], v[122:123] offset1:1
	ds_write2_b64 v75, v[124:125], v[126:127] offset0:2 offset1:3
	ds_write_b64 v75, v[128:129] offset:32
	s_and_saveexec_b64 s[6:7], s[0:1]
	s_cbranch_execz .LBB0_17
; %bb.16:
	v_sub_f32_e32 v13, v11, v41
	v_sub_f32_e32 v23, v59, v43
	v_add_f32_e32 v13, v23, v13
	v_add_f32_e32 v23, v43, v41
	v_sub_f32_e32 v106, v41, v11
	v_sub_f32_e32 v109, v43, v59
	v_fma_f32 v23, -0.5, v23, v5
	v_add_f32_e32 v109, v109, v106
	v_add_f32_e32 v106, v59, v11
	v_sub_f32_e32 v108, v12, v60
	v_mov_b32_e32 v110, v23
	v_fma_f32 v114, -0.5, v106, v5
	v_fmac_f32_e32 v110, 0x3f737871, v108
	v_sub_f32_e32 v111, v42, v44
	v_mov_b32_e32 v113, v114
	v_fmac_f32_e32 v23, 0xbf737871, v108
	v_add_f32_e32 v5, v11, v5
	v_add_f32_e32 v7, v9, v7
	v_fmac_f32_e32 v110, 0x3f167918, v111
	v_fmac_f32_e32 v113, 0xbf737871, v111
	;; [unrolled: 1-line block ×4, first 2 shown]
	v_add_f32_e32 v5, v41, v5
	v_add_f32_e32 v7, v35, v7
	v_fmac_f32_e32 v110, 0x3e9e377a, v13
	v_mul_f32_e32 v112, 0xbf167918, v101
	v_fmac_f32_e32 v113, 0x3f167918, v108
	v_mul_f32_e32 v115, 0xbf737871, v103
	;; [unrolled: 2-line block ×4, first 2 shown]
	v_add_f32_e32 v5, v43, v5
	v_add_f32_e32 v7, v39, v7
	v_fmac_f32_e32 v112, 0xbf4f1bbd, v96
	v_fmac_f32_e32 v113, 0x3e9e377a, v109
	;; [unrolled: 1-line block ×6, first 2 shown]
	v_add_f32_e32 v5, v59, v5
	v_add_f32_e32 v7, v47, v7
	v_sub_f32_e32 v107, v110, v112
	v_sub_f32_e32 v106, v113, v115
	;; [unrolled: 1-line block ×4, first 2 shown]
	v_add_f32_e32 v110, v110, v112
	v_add_f32_e32 v113, v113, v115
	;; [unrolled: 1-line block ×5, first 2 shown]
	v_add_u32_e32 v5, 0x1c20, v105
	v_sub_f32_e32 v108, v23, v13
	ds_write2_b64 v5, v[114:115], v[112:113] offset1:1
	v_add_u32_e32 v5, 0x1c30, v105
	ds_write2_b64 v5, v[110:111], v[108:109] offset1:1
	ds_write_b64 v105, v[106:107] offset:7232
.LBB0_17:
	s_or_b64 exec, exec, s[6:7]
	v_add_f32_e32 v7, v78, v84
	v_fma_f32 v7, -0.5, v7, v66
	v_sub_f32_e32 v9, v81, v79
	v_mov_b32_e32 v13, v7
	v_fmac_f32_e32 v13, 0x3f737871, v9
	v_sub_f32_e32 v23, v83, v77
	v_sub_f32_e32 v35, v82, v84
	;; [unrolled: 1-line block ×3, first 2 shown]
	v_fmac_f32_e32 v7, 0xbf737871, v9
	v_fmac_f32_e32 v13, 0x3f167918, v23
	v_add_f32_e32 v35, v39, v35
	v_fmac_f32_e32 v7, 0xbf167918, v23
	v_fmac_f32_e32 v13, 0x3e9e377a, v35
	;; [unrolled: 1-line block ×3, first 2 shown]
	v_add_f32_e32 v35, v80, v82
	v_add_f32_e32 v5, v82, v66
	v_fmac_f32_e32 v66, -0.5, v35
	v_mov_b32_e32 v35, v66
	v_fmac_f32_e32 v35, 0xbf737871, v23
	v_fmac_f32_e32 v66, 0x3f737871, v23
	;; [unrolled: 1-line block ×4, first 2 shown]
	v_add_f32_e32 v9, v76, v68
	v_add_f32_e32 v5, v84, v5
	;; [unrolled: 1-line block ×4, first 2 shown]
	v_sub_f32_e32 v39, v84, v82
	v_sub_f32_e32 v47, v78, v80
	v_add_f32_e32 v9, v72, v9
	v_add_f32_e32 v5, v80, v5
	;; [unrolled: 1-line block ×4, first 2 shown]
	v_mul_f32_e32 v47, 0x3e9e377a, v71
	v_add_f32_e32 v76, v9, v5
	v_fma_f32 v47, v67, s9, -v47
	v_mul_f32_e32 v67, 0x3f4f1bbd, v90
	v_sub_f32_e32 v81, v5, v9
	v_add_f32_e32 v5, v62, v52
	v_fmac_f32_e32 v35, 0x3e9e377a, v39
	v_fmac_f32_e32 v66, 0x3e9e377a, v39
	v_mul_f32_e32 v23, 0x3f167918, v85
	v_mul_f32_e32 v39, 0x3f737871, v86
	v_fma_f32 v0, v0, s8, -v67
	v_fma_f32 v5, -0.5, v5, v34
	v_fmac_f32_e32 v23, 0x3f4f1bbd, v91
	v_fmac_f32_e32 v39, 0x3e9e377a, v73
	v_add_f32_e32 v80, v7, v0
	v_sub_f32_e32 v85, v7, v0
	v_sub_f32_e32 v7, v49, v63
	v_mov_b32_e32 v9, v5
	v_add_f32_e32 v77, v13, v23
	v_add_f32_e32 v78, v35, v39
	v_sub_f32_e32 v82, v13, v23
	v_sub_f32_e32 v83, v35, v39
	v_fmac_f32_e32 v9, 0x3f737871, v7
	v_sub_f32_e32 v13, v51, v61
	v_sub_f32_e32 v23, v50, v52
	;; [unrolled: 1-line block ×3, first 2 shown]
	v_fmac_f32_e32 v5, 0xbf737871, v7
	v_fmac_f32_e32 v9, 0x3f167918, v13
	v_add_f32_e32 v23, v35, v23
	v_fmac_f32_e32 v5, 0xbf167918, v13
	v_fmac_f32_e32 v9, 0x3e9e377a, v23
	;; [unrolled: 1-line block ×3, first 2 shown]
	v_add_f32_e32 v23, v64, v50
	v_add_f32_e32 v0, v50, v34
	v_fmac_f32_e32 v34, -0.5, v23
	v_mov_b32_e32 v23, v34
	v_fmac_f32_e32 v23, 0xbf737871, v13
	v_fmac_f32_e32 v34, 0x3f737871, v13
	;; [unrolled: 1-line block ×4, first 2 shown]
	v_add_f32_e32 v7, v46, v38
	v_mul_f32_e32 v38, 0x3e9e377a, v53
	v_fma_f32 v37, v37, s9, -v38
	v_mul_f32_e32 v38, 0x3f4f1bbd, v94
	v_add_f32_e32 v0, v52, v0
	v_sub_f32_e32 v35, v52, v50
	v_sub_f32_e32 v39, v62, v64
	v_add_f32_e32 v7, v58, v7
	v_fma_f32 v38, v65, s8, -v38
	v_add_f32_e32 v0, v62, v0
	v_add_f32_e32 v35, v39, v35
	v_add_f32_e32 v7, v56, v7
	v_mul_f32_e32 v13, 0x3f167918, v92
	v_add_f32_e32 v106, v5, v38
	v_sub_f32_e32 v111, v5, v38
	v_add_f32_e32 v5, v26, v32
	v_add_f32_e32 v0, v64, v0
	v_fmac_f32_e32 v23, 0x3e9e377a, v35
	v_fmac_f32_e32 v34, 0x3e9e377a, v35
	v_add_f32_e32 v7, v54, v7
	v_fmac_f32_e32 v13, 0x3f4f1bbd, v45
	v_mul_f32_e32 v35, 0x3f737871, v93
	v_fma_f32 v5, -0.5, v5, v14
	v_add_f32_e32 v90, v7, v0
	v_add_f32_e32 v91, v9, v13
	v_fmac_f32_e32 v35, 0x3e9e377a, v55
	v_sub_f32_e32 v107, v0, v7
	v_sub_f32_e32 v108, v9, v13
	;; [unrolled: 1-line block ×3, first 2 shown]
	v_mov_b32_e32 v9, v5
	v_add_f32_e32 v92, v23, v35
	v_sub_f32_e32 v109, v23, v35
	v_fmac_f32_e32 v9, 0x3f737871, v7
	v_sub_f32_e32 v13, v31, v25
	v_sub_f32_e32 v23, v30, v32
	;; [unrolled: 1-line block ×3, first 2 shown]
	v_fmac_f32_e32 v5, 0xbf737871, v7
	v_fmac_f32_e32 v9, 0x3f167918, v13
	v_add_f32_e32 v23, v25, v23
	v_fmac_f32_e32 v5, 0xbf167918, v13
	v_fmac_f32_e32 v9, 0x3e9e377a, v23
	;; [unrolled: 1-line block ×3, first 2 shown]
	v_add_f32_e32 v23, v28, v30
	v_add_f32_e32 v0, v30, v14
	v_fmac_f32_e32 v14, -0.5, v23
	v_mov_b32_e32 v23, v14
	v_fmac_f32_e32 v23, 0xbf737871, v13
	v_fmac_f32_e32 v14, 0x3f737871, v13
	;; [unrolled: 1-line block ×4, first 2 shown]
	v_add_f32_e32 v7, v24, v16
	v_add_f32_e32 v0, v32, v0
	;; [unrolled: 1-line block ×5, first 2 shown]
	v_mul_f32_e32 v17, 0x3e9e377a, v17
	v_add_f32_e32 v0, v28, v0
	v_sub_f32_e32 v25, v32, v30
	v_sub_f32_e32 v26, v26, v28
	v_add_f32_e32 v7, v22, v7
	v_fma_f32 v15, v15, s9, -v17
	v_mul_f32_e32 v17, 0x3f4f1bbd, v97
	v_add_f32_e32 v25, v26, v25
	v_add_f32_e32 v112, v7, v0
	v_mul_f32_e32 v13, 0x3f167918, v57
	v_mul_f32_e32 v16, 0x3f737871, v95
	v_fma_f32 v17, v33, s8, -v17
	v_sub_f32_e32 v115, v0, v7
	v_lshl_add_u32 v0, v87, 2, 0
	s_movk_i32 s6, 0xffdc
	v_add_f32_e32 v79, v66, v47
	v_sub_f32_e32 v84, v66, v47
	v_fmac_f32_e32 v23, 0x3e9e377a, v25
	v_fmac_f32_e32 v14, 0x3e9e377a, v25
	;; [unrolled: 1-line block ×4, first 2 shown]
	v_add_f32_e32 v114, v5, v17
	v_sub_f32_e32 v119, v5, v17
	v_add_u32_e32 v47, 0x400, v0
	v_add_u32_e32 v35, 0xa00, v0
	;; [unrolled: 1-line block ×5, first 2 shown]
	v_mad_i32_i24 v5, v88, s6, v69
	v_mad_i32_i24 v7, v89, s6, v75
	v_add_u32_e32 v66, 0x600, v0
	v_add_u32_e32 v71, 0xc00, v0
	;; [unrolled: 1-line block ×5, first 2 shown]
	v_add_f32_e32 v93, v34, v37
	v_sub_f32_e32 v110, v34, v37
	v_add_f32_e32 v113, v9, v13
	v_add_f32_e32 v94, v23, v16
	;; [unrolled: 1-line block ×3, first 2 shown]
	v_sub_f32_e32 v116, v9, v13
	v_sub_f32_e32 v117, v23, v16
	;; [unrolled: 1-line block ×3, first 2 shown]
	s_waitcnt lgkmcnt(0)
	; wave barrier
	s_waitcnt lgkmcnt(0)
	ds_read2_b32 v[15:16], v0 offset1:180
	ds_read2_b32 v[55:56], v47 offset0:104 offset1:164
	ds_read2_b32 v[53:54], v35 offset0:80 offset1:140
	;; [unrolled: 1-line block ×5, first 2 shown]
	ds_read_b32 v61, v5
	ds_read_b32 v7, v7
	ds_read2_b32 v[45:46], v66 offset0:96 offset1:156
	ds_read2_b32 v[37:38], v71 offset0:72 offset1:132
	;; [unrolled: 1-line block ×10, first 2 shown]
	v_add_u32_e32 v73, 0x1e00, v0
	ds_read2_b32 v[17:18], v73 offset0:120 offset1:180
	v_add_u32_e32 v39, 0xb4, v87
	v_mul_i32_i24_e32 v62, 0xffffffdc, v88
	v_mul_i32_i24_e32 v63, 0xffffffdc, v89
	s_waitcnt lgkmcnt(0)
	; wave barrier
	s_waitcnt lgkmcnt(0)
	ds_write2_b64 v105, v[76:77], v[78:79] offset1:1
	ds_write2_b64 v105, v[80:81], v[82:83] offset0:2 offset1:3
	ds_write_b64 v105, v[84:85] offset:32
	ds_write2_b64 v69, v[90:91], v[92:93] offset1:1
	ds_write2_b64 v69, v[106:107], v[108:109] offset0:2 offset1:3
	ds_write_b64 v69, v[110:111] offset:32
	;; [unrolled: 3-line block ×3, first 2 shown]
	s_and_saveexec_b64 s[6:7], s[0:1]
	s_cbranch_execz .LBB0_19
; %bb.18:
	v_add_f32_e32 v9, v44, v42
	v_fma_f32 v64, -0.5, v9, v6
	v_sub_f32_e32 v9, v11, v59
	v_mov_b32_e32 v59, v64
	v_fmac_f32_e32 v59, 0x3f737871, v9
	v_sub_f32_e32 v11, v41, v43
	v_sub_f32_e32 v41, v12, v42
	;; [unrolled: 1-line block ×3, first 2 shown]
	v_fmac_f32_e32 v64, 0xbf737871, v9
	v_fmac_f32_e32 v59, 0x3f167918, v11
	v_add_f32_e32 v41, v43, v41
	v_fmac_f32_e32 v64, 0xbf167918, v11
	v_fmac_f32_e32 v59, 0x3e9e377a, v41
	;; [unrolled: 1-line block ×3, first 2 shown]
	v_add_f32_e32 v41, v60, v12
	v_add_f32_e32 v5, v12, v6
	v_fmac_f32_e32 v6, -0.5, v41
	v_mov_b32_e32 v43, v6
	v_add_f32_e32 v8, v10, v8
	v_add_f32_e32 v5, v42, v5
	v_fmac_f32_e32 v43, 0xbf737871, v11
	v_sub_f32_e32 v12, v42, v12
	v_sub_f32_e32 v41, v44, v60
	v_fmac_f32_e32 v6, 0x3f737871, v11
	v_add_f32_e32 v8, v36, v8
	v_add_f32_e32 v5, v44, v5
	v_fmac_f32_e32 v43, 0x3f167918, v9
	v_add_f32_e32 v12, v41, v12
	v_fmac_f32_e32 v6, 0xbf167918, v9
	v_add_f32_e32 v8, v40, v8
	v_add_f32_e32 v5, v60, v5
	s_mov_b32 s0, 0x3f737871
	v_fmac_f32_e32 v43, 0x3e9e377a, v12
	v_fmac_f32_e32 v6, 0x3e9e377a, v12
	v_add_f32_e32 v12, v48, v8
	v_mul_f32_e32 v36, 0x3f167918, v98
	v_mul_f32_e32 v44, 0x3f737871, v100
	;; [unrolled: 1-line block ×3, first 2 shown]
	s_mov_b32 s1, 0x3f167918
	v_add_f32_e32 v8, v12, v5
	v_fmac_f32_e32 v36, 0x3f4f1bbd, v102
	v_fmac_f32_e32 v44, 0x3e9e377a, v104
	v_fma_f32 v48, v99, s0, -v11
	v_mul_f32_e32 v40, 0x3f4f1bbd, v101
	v_sub_f32_e32 v41, v5, v12
	v_mul_u32_u24_e32 v12, 10, v39
	v_add_f32_e32 v9, v59, v36
	v_add_f32_e32 v10, v43, v44
	;; [unrolled: 1-line block ×3, first 2 shown]
	v_fma_f32 v60, v96, s1, -v40
	v_lshl_add_u32 v12, v12, 2, 0
	v_add_f32_e32 v40, v64, v60
	v_sub_f32_e32 v42, v59, v36
	v_sub_f32_e32 v43, v43, v44
	v_sub_f32_e32 v5, v6, v48
	v_sub_f32_e32 v6, v64, v60
	ds_write2_b64 v12, v[8:9], v[10:11] offset1:1
	ds_write2_b64 v12, v[40:41], v[42:43] offset0:2 offset1:3
	ds_write_b64 v12, v[5:6] offset:32
.LBB0_19:
	s_or_b64 exec, exec, s[6:7]
	s_movk_i32 s0, 0xcd
	v_mul_lo_u16_sdwa v5, v87, s0 dst_sel:DWORD dst_unused:UNUSED_PAD src0_sel:BYTE_0 src1_sel:DWORD
	v_lshrrev_b16_e32 v5, 11, v5
	v_mul_lo_u16_e32 v6, 10, v5
	v_sub_u16_e32 v6, v87, v6
	v_mov_b32_e32 v9, 5
	v_mul_u32_u24_sdwa v8, v6, v9 dst_sel:DWORD dst_unused:UNUSED_PAD src0_sel:BYTE_0 src1_sel:DWORD
	v_lshlrev_b32_e32 v44, 3, v8
	v_mul_lo_u16_sdwa v8, v88, s0 dst_sel:DWORD dst_unused:UNUSED_PAD src0_sel:BYTE_0 src1_sel:DWORD
	v_lshrrev_b16_e32 v8, 11, v8
	v_mul_lo_u16_e32 v10, 10, v8
	v_sub_u16_e32 v10, v88, v10
	s_waitcnt lgkmcnt(0)
	; wave barrier
	s_waitcnt lgkmcnt(0)
	global_load_dwordx4 v[76:79], v44, s[12:13]
	v_mul_u32_u24_sdwa v11, v10, v9 dst_sel:DWORD dst_unused:UNUSED_PAD src0_sel:BYTE_0 src1_sel:DWORD
	v_lshlrev_b32_e32 v48, 3, v11
	v_mul_lo_u16_sdwa v11, v89, s0 dst_sel:DWORD dst_unused:UNUSED_PAD src0_sel:BYTE_0 src1_sel:DWORD
	global_load_dwordx4 v[80:83], v44, s[12:13] offset:16
	global_load_dwordx4 v[90:93], v48, s[12:13]
	v_lshrrev_b16_e32 v12, 11, v11
	v_mul_lo_u16_e32 v11, 10, v12
	global_load_dwordx4 v[94:97], v48, s[12:13] offset:16
	v_sub_u16_e32 v36, v89, v11
	v_mul_u32_u24_sdwa v11, v36, v9 dst_sel:DWORD dst_unused:UNUSED_PAD src0_sel:BYTE_0 src1_sel:DWORD
	v_lshlrev_b32_e32 v64, 3, v11
	v_mul_lo_u16_sdwa v11, v39, s0 dst_sel:DWORD dst_unused:UNUSED_PAD src0_sel:BYTE_0 src1_sel:DWORD
	global_load_dwordx4 v[98:101], v64, s[12:13]
	global_load_dwordx4 v[102:105], v64, s[12:13] offset:16
	v_lshrrev_b16_e32 v40, 11, v11
	v_mul_lo_u16_e32 v11, 10, v40
	v_sub_u16_e32 v41, v39, v11
	v_mul_u32_u24_sdwa v9, v41, v9 dst_sel:DWORD dst_unused:UNUSED_PAD src0_sel:BYTE_0 src1_sel:DWORD
	v_lshlrev_b32_e32 v70, 3, v9
	global_load_dwordx4 v[106:109], v70, s[12:13]
	ds_read2_b32 v[42:43], v47 offset0:104 offset1:164
	ds_read2_b32 v[59:60], v35 offset0:80 offset1:140
	ds_read2_b32 v[84:85], v57 offset0:56 offset1:116
	ds_read2_b32 v[110:111], v65 offset0:160 offset1:220
	ds_read2_b32 v[112:113], v66 offset0:96 offset1:156
	ds_read2_b32 v[114:115], v71 offset0:72 offset1:132
	ds_read2_b32 v[116:117], v57 offset0:176 offset1:236
	ds_read2_b32 v[118:119], v72 offset0:24 offset1:84
	global_load_dwordx2 v[120:121], v44, s[12:13] offset:32
	global_load_dwordx2 v[122:123], v48, s[12:13] offset:32
	;; [unrolled: 1-line block ×3, first 2 shown]
	v_add_u32_e32 v11, 0xf0, v87
	s_mov_b32 s0, 0xcccd
	v_add_u32_e32 v9, 0x12c, v87
	v_add_u32_e32 v69, v69, v62
	v_mul_u32_u24_e32 v5, 0xf0, v5
	s_waitcnt vmcnt(9) lgkmcnt(7)
	v_mul_f32_e32 v64, v42, v77
	v_mul_f32_e32 v44, v55, v77
	s_waitcnt lgkmcnt(6)
	v_mul_f32_e32 v86, v59, v79
	v_mul_f32_e32 v48, v53, v79
	v_fmac_f32_e32 v64, v55, v76
	v_fma_f32 v128, v42, v76, -v44
	v_fmac_f32_e32 v86, v53, v78
	v_fma_f32 v129, v59, v78, -v48
	global_load_dwordx2 v[126:127], v70, s[12:13] offset:32
	global_load_dwordx4 v[76:79], v70, s[12:13] offset:16
	s_waitcnt vmcnt(9)
	v_mul_f32_e32 v131, v43, v91
	v_mul_f32_e32 v42, v56, v91
	v_fmac_f32_e32 v131, v56, v90
	v_fma_f32 v56, v43, v90, -v42
	v_mul_f32_e32 v42, v54, v93
	v_fma_f32 v134, v60, v92, -v42
	s_waitcnt vmcnt(8)
	v_mul_f32_e32 v42, v50, v95
	v_mul_f32_e32 v43, v51, v83
	s_waitcnt lgkmcnt(5)
	v_mul_f32_e32 v135, v85, v95
	v_fma_f32 v85, v85, v94, -v42
	v_mul_u32_u24_sdwa v42, v11, s0 dst_sel:DWORD dst_unused:UNUSED_PAD src0_sel:WORD_0 src1_sel:DWORD
	s_waitcnt lgkmcnt(4)
	v_mul_f32_e32 v132, v110, v83
	v_mul_f32_e32 v95, v111, v97
	;; [unrolled: 1-line block ×3, first 2 shown]
	s_waitcnt vmcnt(7) lgkmcnt(3)
	v_mul_f32_e32 v97, v112, v99
	v_mul_f32_e32 v53, v45, v99
	v_fma_f32 v99, v110, v82, -v43
	s_waitcnt lgkmcnt(2)
	v_mul_f32_e32 v110, v114, v101
	v_lshrrev_b32_e32 v42, 19, v42
	v_fmac_f32_e32 v110, v37, v100
	v_mul_lo_u16_e32 v43, 10, v42
	v_mul_f32_e32 v37, v37, v101
	v_mul_f32_e32 v44, v49, v81
	v_fmac_f32_e32 v135, v50, v94
	v_fmac_f32_e32 v95, v52, v96
	v_fma_f32 v94, v111, v96, -v48
	v_fmac_f32_e32 v97, v45, v98
	v_fma_f32 v96, v112, v98, -v53
	v_sub_u16_e32 v43, v11, v43
	v_fma_f32 v98, v114, v100, -v37
	s_waitcnt vmcnt(6) lgkmcnt(1)
	v_mul_f32_e32 v100, v116, v103
	v_mul_f32_e32 v130, v84, v81
	v_fma_f32 v84, v84, v80, -v44
	v_mul_u32_u24_e32 v44, 5, v43
	v_fmac_f32_e32 v100, v33, v102
	v_mul_f32_e32 v33, v33, v103
	v_mul_f32_e32 v133, v60, v93
	v_lshlrev_b32_e32 v44, 3, v44
	v_fma_f32 v101, v116, v102, -v33
	s_waitcnt lgkmcnt(0)
	v_mul_f32_e32 v102, v118, v105
	v_fmac_f32_e32 v133, v54, v92
	v_fmac_f32_e32 v130, v49, v80
	;; [unrolled: 1-line block ×3, first 2 shown]
	global_load_dwordx4 v[48:51], v44, s[12:13] offset:16
	global_load_dwordx4 v[52:55], v44, s[12:13]
	v_fmac_f32_e32 v102, v31, v104
	v_mul_f32_e32 v31, v31, v105
	v_fma_f32 v103, v118, v104, -v31
	s_waitcnt vmcnt(7)
	v_mul_f32_e32 v104, v113, v107
	v_mul_f32_e32 v31, v46, v107
	v_fmac_f32_e32 v104, v46, v106
	v_fma_f32 v46, v113, v106, -v31
	v_mul_u32_u24_sdwa v31, v9, s0 dst_sel:DWORD dst_unused:UNUSED_PAD src0_sel:WORD_0 src1_sel:DWORD
	v_lshrrev_b32_e32 v105, 19, v31
	v_mul_lo_u16_e32 v31, 10, v105
	v_sub_u16_e32 v106, v9, v31
	v_mul_u32_u24_e32 v31, 5, v106
	v_lshlrev_b32_e32 v31, 3, v31
	v_mul_f32_e32 v107, v115, v109
	global_load_dwordx2 v[44:45], v44, s[12:13] offset:32
	v_fmac_f32_e32 v107, v38, v108
	global_load_dwordx4 v[80:83], v31, s[12:13]
	v_mul_f32_e32 v33, v38, v109
	global_load_dwordx4 v[90:93], v31, s[12:13] offset:16
	global_load_dwordx2 v[37:38], v31, s[12:13] offset:32
	v_fma_f32 v108, v115, v108, -v33
	ds_read2_b32 v[59:60], v0 offset1:180
	v_add_u32_e32 v70, v75, v63
	s_movk_i32 s0, 0x89
	s_waitcnt vmcnt(7)
	v_mul_f32_e32 v116, v30, v127
	s_waitcnt vmcnt(6)
	v_mul_f32_e32 v109, v117, v77
	v_fmac_f32_e32 v109, v34, v76
	v_mul_f32_e32 v31, v34, v77
	ds_read2_b32 v[33:34], v58 offset0:8 offset1:68
	v_mul_f32_e32 v77, v119, v79
	v_fma_f32 v76, v117, v76, -v31
	v_fmac_f32_e32 v77, v32, v78
	v_mul_f32_e32 v62, v32, v79
	ds_read2_b32 v[31:32], v58 offset0:128 offset1:188
	v_fma_f32 v78, v119, v78, -v62
	ds_read2_b32 v[62:63], v67 offset0:88 offset1:148
	ds_read2_b32 v[74:75], v71 offset0:192 offset1:252
	s_waitcnt lgkmcnt(3)
	v_mul_f32_e32 v79, v33, v121
	v_fmac_f32_e32 v79, v27, v120
	v_mul_f32_e32 v27, v27, v121
	v_mul_f32_e32 v112, v34, v123
	v_fma_f32 v111, v33, v120, -v27
	v_fmac_f32_e32 v112, v28, v122
	v_mul_f32_e32 v33, v28, v123
	ds_read2_b32 v[27:28], v65 offset0:40 offset1:100
	v_fma_f32 v113, v34, v122, -v33
	ds_read2_b32 v[33:34], v72 offset0:144 offset1:204
	s_waitcnt lgkmcnt(4)
	v_mul_f32_e32 v115, v32, v127
	v_fma_f32 v32, v32, v126, -v116
	v_mul_f32_e32 v114, v31, v125
	v_fmac_f32_e32 v114, v29, v124
	v_mul_f32_e32 v29, v29, v125
	v_fma_f32 v31, v31, v124, -v29
	v_fmac_f32_e32 v115, v30, v126
	ds_read2_b32 v[29:30], v73 offset0:120 offset1:180
	s_waitcnt vmcnt(4) lgkmcnt(4)
	v_mul_f32_e32 v116, v62, v53
	v_fmac_f32_e32 v116, v25, v52
	v_mul_f32_e32 v25, v25, v53
	s_waitcnt lgkmcnt(3)
	v_mul_f32_e32 v53, v74, v55
	v_fmac_f32_e32 v53, v23, v54
	v_mul_f32_e32 v23, v23, v55
	v_fma_f32 v23, v74, v54, -v23
	s_waitcnt lgkmcnt(2)
	v_mul_f32_e32 v54, v27, v49
	v_fmac_f32_e32 v54, v21, v48
	v_mul_f32_e32 v21, v21, v49
	v_fma_f32 v21, v27, v48, -v21
	;; [unrolled: 5-line block ×3, first 2 shown]
	v_add_f32_e32 v51, v129, v99
	s_waitcnt vmcnt(3) lgkmcnt(0)
	v_mul_f32_e32 v49, v29, v45
	v_fma_f32 v51, -0.5, v51, v59
	s_waitcnt vmcnt(1)
	v_mul_f32_e32 v50, v28, v91
	v_fmac_f32_e32 v50, v22, v90
	v_mul_f32_e32 v22, v22, v91
	v_fma_f32 v22, v28, v90, -v22
	v_mul_f32_e32 v28, v34, v93
	v_fmac_f32_e32 v28, v20, v92
	v_mul_f32_e32 v20, v20, v93
	v_fma_f32 v20, v34, v92, -v20
	s_waitcnt vmcnt(0)
	v_mul_f32_e32 v34, v30, v38
	v_fmac_f32_e32 v34, v18, v37
	v_mul_f32_e32 v18, v18, v38
	v_fma_f32 v18, v30, v37, -v18
	v_add_f32_e32 v37, v86, v132
	v_add_f32_e32 v30, v15, v86
	v_fma_f32 v15, -0.5, v37, v15
	v_sub_f32_e32 v37, v129, v99
	v_mov_b32_e32 v38, v15
	v_fma_f32 v52, v62, v52, -v25
	v_fmac_f32_e32 v49, v17, v44
	v_mul_f32_e32 v17, v17, v45
	v_fmac_f32_e32 v38, 0xbf5db3d7, v37
	v_fmac_f32_e32 v15, 0x3f5db3d7, v37
	v_add_f32_e32 v37, v59, v129
	v_sub_f32_e32 v55, v86, v132
	v_mov_b32_e32 v59, v51
	v_add_f32_e32 v62, v130, v79
	v_fma_f32 v17, v29, v44, -v17
	v_mul_f32_e32 v44, v26, v81
	v_fmac_f32_e32 v59, 0x3f5db3d7, v55
	v_fmac_f32_e32 v51, 0xbf5db3d7, v55
	v_add_f32_e32 v55, v64, v130
	v_fmac_f32_e32 v64, -0.5, v62
	v_mul_f32_e32 v29, v63, v81
	v_fma_f32 v44, v63, v80, -v44
	v_mul_f32_e32 v45, v75, v83
	v_sub_f32_e32 v62, v84, v111
	v_mov_b32_e32 v63, v64
	v_add_f32_e32 v74, v84, v111
	v_fmac_f32_e32 v45, v24, v82
	v_mul_f32_e32 v24, v24, v83
	v_fmac_f32_e32 v63, 0xbf5db3d7, v62
	v_fmac_f32_e32 v64, 0x3f5db3d7, v62
	v_add_f32_e32 v62, v128, v84
	v_fmac_f32_e32 v128, -0.5, v74
	v_fma_f32 v24, v75, v82, -v24
	v_sub_f32_e32 v74, v130, v79
	v_mov_b32_e32 v75, v128
	v_fmac_f32_e32 v75, 0x3f5db3d7, v74
	v_add_f32_e32 v55, v55, v79
	v_fmac_f32_e32 v128, 0xbf5db3d7, v74
	v_mul_f32_e32 v79, 0xbf5db3d7, v75
	v_mul_f32_e32 v75, 0.5, v75
	ds_read_b32 v33, v69
	ds_read_b32 v48, v70
	v_add_f32_e32 v30, v30, v132
	v_fmac_f32_e32 v79, 0.5, v63
	v_fmac_f32_e32 v75, 0x3f5db3d7, v63
	v_mul_f32_e32 v63, -0.5, v128
	v_add_f32_e32 v37, v37, v99
	v_add_f32_e32 v74, v30, v55
	;; [unrolled: 1-line block ×3, first 2 shown]
	v_fmac_f32_e32 v63, 0x3f5db3d7, v64
	v_sub_f32_e32 v30, v30, v55
	v_sub_f32_e32 v55, v59, v75
	v_add_f32_e32 v59, v133, v95
	v_add_f32_e32 v62, v62, v111
	;; [unrolled: 1-line block ×3, first 2 shown]
	v_sub_f32_e32 v117, v51, v63
	v_add_f32_e32 v51, v61, v133
	v_fmac_f32_e32 v61, -0.5, v59
	v_add_f32_e32 v86, v37, v62
	v_sub_f32_e32 v37, v37, v62
	v_sub_f32_e32 v59, v134, v94
	v_mov_b32_e32 v62, v61
	v_add_f32_e32 v63, v134, v94
	v_mul_f32_e32 v81, 0xbf5db3d7, v128
	v_fmac_f32_e32 v62, 0xbf5db3d7, v59
	v_fmac_f32_e32 v61, 0x3f5db3d7, v59
	s_waitcnt lgkmcnt(1)
	v_add_f32_e32 v59, v33, v134
	v_fmac_f32_e32 v33, -0.5, v63
	v_fmac_f32_e32 v81, -0.5, v64
	v_sub_f32_e32 v63, v133, v95
	v_mov_b32_e32 v64, v33
	v_add_f32_e32 v75, v135, v112
	v_fmac_f32_e32 v64, 0x3f5db3d7, v63
	v_fmac_f32_e32 v33, 0xbf5db3d7, v63
	v_add_f32_e32 v63, v131, v135
	v_fmac_f32_e32 v131, -0.5, v75
	v_fmac_f32_e32 v29, v26, v80
	v_add_f32_e32 v80, v38, v79
	v_add_f32_e32 v82, v15, v81
	v_sub_f32_e32 v38, v38, v79
	v_sub_f32_e32 v15, v15, v81
	;; [unrolled: 1-line block ×3, first 2 shown]
	v_mov_b32_e32 v79, v131
	v_add_f32_e32 v81, v85, v113
	v_fmac_f32_e32 v79, 0xbf5db3d7, v75
	v_fmac_f32_e32 v131, 0x3f5db3d7, v75
	v_add_f32_e32 v75, v56, v85
	v_fmac_f32_e32 v56, -0.5, v81
	v_sub_f32_e32 v81, v135, v112
	v_mov_b32_e32 v83, v56
	v_fmac_f32_e32 v56, 0xbf5db3d7, v81
	v_add_f32_e32 v59, v59, v94
	v_add_f32_e32 v75, v75, v113
	v_fmac_f32_e32 v83, 0x3f5db3d7, v81
	v_mul_f32_e32 v90, 0xbf5db3d7, v56
	v_mul_f32_e32 v56, -0.5, v56
	v_mul_f32_e32 v84, 0xbf5db3d7, v83
	v_add_f32_e32 v94, v59, v75
	v_mul_f32_e32 v83, 0.5, v83
	v_fmac_f32_e32 v56, 0x3f5db3d7, v131
	v_sub_f32_e32 v113, v59, v75
	v_add_f32_e32 v59, v110, v102
	v_add_f32_e32 v51, v51, v95
	;; [unrolled: 1-line block ×3, first 2 shown]
	v_fmac_f32_e32 v83, 0x3f5db3d7, v79
	v_add_f32_e32 v112, v33, v56
	v_sub_f32_e32 v33, v33, v56
	v_add_f32_e32 v56, v7, v110
	v_fmac_f32_e32 v7, -0.5, v59
	v_add_f32_e32 v81, v51, v63
	v_add_f32_e32 v95, v64, v83
	v_sub_f32_e32 v51, v51, v63
	v_sub_f32_e32 v118, v64, v83
	;; [unrolled: 1-line block ×3, first 2 shown]
	v_mov_b32_e32 v63, v7
	v_add_f32_e32 v64, v98, v103
	v_fmac_f32_e32 v63, 0xbf5db3d7, v59
	v_fmac_f32_e32 v7, 0x3f5db3d7, v59
	s_waitcnt lgkmcnt(0)
	v_add_f32_e32 v59, v48, v98
	v_fmac_f32_e32 v48, -0.5, v64
	v_fmac_f32_e32 v84, 0.5, v79
	v_sub_f32_e32 v64, v110, v102
	v_mov_b32_e32 v75, v48
	v_add_f32_e32 v79, v100, v114
	v_fmac_f32_e32 v75, 0x3f5db3d7, v64
	v_fmac_f32_e32 v48, 0xbf5db3d7, v64
	v_add_f32_e32 v64, v97, v100
	v_fmac_f32_e32 v97, -0.5, v79
	v_sub_f32_e32 v79, v101, v31
	v_mov_b32_e32 v83, v97
	v_fmac_f32_e32 v83, 0xbf5db3d7, v79
	v_fmac_f32_e32 v97, 0x3f5db3d7, v79
	v_add_f32_e32 v79, v96, v101
	v_add_f32_e32 v79, v79, v31
	;; [unrolled: 1-line block ×3, first 2 shown]
	v_fmac_f32_e32 v96, -0.5, v31
	v_add_f32_e32 v85, v62, v84
	v_sub_f32_e32 v62, v62, v84
	v_sub_f32_e32 v31, v100, v114
	v_mov_b32_e32 v84, v96
	v_fmac_f32_e32 v90, -0.5, v131
	v_fmac_f32_e32 v84, 0x3f5db3d7, v31
	v_add_f32_e32 v91, v61, v90
	v_sub_f32_e32 v61, v61, v90
	v_add_f32_e32 v56, v56, v102
	v_add_f32_e32 v64, v64, v114
	v_fmac_f32_e32 v96, 0xbf5db3d7, v31
	v_mul_f32_e32 v90, 0xbf5db3d7, v84
	v_mul_f32_e32 v84, 0.5, v84
	v_add_f32_e32 v59, v59, v103
	v_add_f32_e32 v31, v56, v64
	v_fmac_f32_e32 v90, 0.5, v83
	v_mul_f32_e32 v93, 0xbf5db3d7, v96
	v_fmac_f32_e32 v84, 0x3f5db3d7, v83
	v_mul_f32_e32 v83, -0.5, v96
	v_sub_f32_e32 v56, v56, v64
	v_add_f32_e32 v64, v107, v77
	v_fmac_f32_e32 v93, -0.5, v97
	v_add_f32_e32 v100, v59, v79
	v_fmac_f32_e32 v83, 0x3f5db3d7, v97
	v_sub_f32_e32 v97, v59, v79
	v_add_f32_e32 v59, v16, v107
	v_fmac_f32_e32 v16, -0.5, v64
	v_add_f32_e32 v101, v75, v84
	v_sub_f32_e32 v102, v75, v84
	v_sub_f32_e32 v64, v108, v78
	v_mov_b32_e32 v75, v16
	v_fmac_f32_e32 v75, 0xbf5db3d7, v64
	v_fmac_f32_e32 v16, 0x3f5db3d7, v64
	v_add_f32_e32 v64, v60, v108
	v_add_f32_e32 v64, v64, v78
	;; [unrolled: 1-line block ×3, first 2 shown]
	v_fmac_f32_e32 v60, -0.5, v78
	v_add_f32_e32 v59, v59, v77
	v_sub_f32_e32 v77, v107, v77
	v_mov_b32_e32 v78, v60
	v_add_f32_e32 v79, v109, v115
	v_fmac_f32_e32 v78, 0x3f5db3d7, v77
	v_fmac_f32_e32 v60, 0xbf5db3d7, v77
	v_add_f32_e32 v77, v104, v109
	v_fmac_f32_e32 v104, -0.5, v79
	v_add_f32_e32 v96, v48, v83
	v_sub_f32_e32 v48, v48, v83
	v_sub_f32_e32 v79, v76, v32
	v_mov_b32_e32 v83, v104
	v_fmac_f32_e32 v83, 0xbf5db3d7, v79
	v_fmac_f32_e32 v104, 0x3f5db3d7, v79
	v_add_f32_e32 v79, v46, v76
	v_add_f32_e32 v79, v79, v32
	;; [unrolled: 1-line block ×3, first 2 shown]
	v_fmac_f32_e32 v46, -0.5, v32
	v_sub_f32_e32 v32, v109, v115
	v_mov_b32_e32 v76, v46
	v_fmac_f32_e32 v46, 0xbf5db3d7, v32
	ds_read2_b32 v[25:26], v68 offset0:112 offset1:172
	v_add_f32_e32 v98, v7, v93
	v_sub_f32_e32 v7, v7, v93
	v_mul_f32_e32 v93, 0xbf5db3d7, v46
	v_mul_f32_e32 v46, -0.5, v46
	v_fmac_f32_e32 v46, 0x3f5db3d7, v104
	v_fmac_f32_e32 v93, -0.5, v104
	v_add_f32_e32 v104, v60, v46
	v_sub_f32_e32 v114, v60, v46
	v_add_f32_e32 v60, v53, v27
	v_add_f32_e32 v46, v13, v53
	v_fma_f32 v13, -0.5, v60, v13
	v_add_f32_e32 v107, v64, v79
	v_sub_f32_e32 v109, v64, v79
	v_sub_f32_e32 v60, v23, v19
	v_mov_b32_e32 v64, v13
	v_fmac_f32_e32 v64, 0xbf5db3d7, v60
	v_fmac_f32_e32 v13, 0x3f5db3d7, v60
	s_waitcnt lgkmcnt(0)
	v_add_f32_e32 v60, v25, v23
	v_add_f32_e32 v60, v60, v19
	;; [unrolled: 1-line block ×3, first 2 shown]
	v_fma_f32 v19, -0.5, v19, v25
	v_add_f32_e32 v46, v46, v27
	v_sub_f32_e32 v23, v53, v27
	v_mov_b32_e32 v25, v19
	v_add_f32_e32 v27, v54, v49
	v_fmac_f32_e32 v25, 0x3f5db3d7, v23
	v_fmac_f32_e32 v19, 0xbf5db3d7, v23
	v_add_f32_e32 v23, v116, v54
	v_fmac_f32_e32 v116, -0.5, v27
	v_sub_f32_e32 v27, v21, v17
	v_mov_b32_e32 v53, v116
	v_fmac_f32_e32 v53, 0xbf5db3d7, v27
	v_fmac_f32_e32 v116, 0x3f5db3d7, v27
	v_add_f32_e32 v27, v52, v21
	v_add_f32_e32 v27, v27, v17
	;; [unrolled: 1-line block ×3, first 2 shown]
	v_fmac_f32_e32 v52, -0.5, v17
	v_sub_f32_e32 v17, v54, v49
	v_mov_b32_e32 v21, v52
	v_fmac_f32_e32 v76, 0x3f5db3d7, v32
	v_fmac_f32_e32 v21, 0x3f5db3d7, v17
	v_mul_f32_e32 v84, 0xbf5db3d7, v76
	v_mul_f32_e32 v76, 0.5, v76
	v_add_f32_e32 v23, v23, v49
	v_mul_f32_e32 v49, 0xbf5db3d7, v21
	v_fmac_f32_e32 v76, 0x3f5db3d7, v83
	v_fmac_f32_e32 v52, 0xbf5db3d7, v17
	v_fmac_f32_e32 v49, 0.5, v53
	v_mul_f32_e32 v21, 0.5, v21
	v_add_f32_e32 v108, v78, v76
	v_sub_f32_e32 v110, v78, v76
	v_add_f32_e32 v17, v46, v23
	v_add_f32_e32 v54, v64, v49
	v_mul_f32_e32 v76, 0xbf5db3d7, v52
	v_fmac_f32_e32 v21, 0x3f5db3d7, v53
	v_mul_f32_e32 v52, -0.5, v52
	v_sub_f32_e32 v23, v46, v23
	v_sub_f32_e32 v46, v64, v49
	v_add_f32_e32 v49, v45, v28
	v_add_f32_e32 v53, v25, v21
	v_fmac_f32_e32 v52, 0x3f5db3d7, v116
	v_sub_f32_e32 v21, v25, v21
	v_add_f32_e32 v25, v14, v45
	v_fmac_f32_e32 v14, -0.5, v49
	v_fmac_f32_e32 v76, -0.5, v116
	v_add_f32_e32 v116, v19, v52
	v_sub_f32_e32 v19, v19, v52
	v_sub_f32_e32 v49, v24, v20
	v_mov_b32_e32 v52, v14
	v_fmac_f32_e32 v52, 0xbf5db3d7, v49
	v_fmac_f32_e32 v14, 0x3f5db3d7, v49
	v_add_f32_e32 v49, v26, v24
	v_add_f32_e32 v49, v49, v20
	v_add_f32_e32 v20, v24, v20
	v_fmac_f32_e32 v26, -0.5, v20
	v_add_f32_e32 v25, v25, v28
	v_sub_f32_e32 v20, v45, v28
	v_mov_b32_e32 v24, v26
	v_add_f32_e32 v28, v50, v34
	v_fmac_f32_e32 v24, 0x3f5db3d7, v20
	v_fmac_f32_e32 v26, 0xbf5db3d7, v20
	v_add_f32_e32 v20, v29, v50
	v_fmac_f32_e32 v29, -0.5, v28
	v_sub_f32_e32 v28, v22, v18
	v_mov_b32_e32 v45, v29
	v_fmac_f32_e32 v45, 0xbf5db3d7, v28
	v_fmac_f32_e32 v29, 0x3f5db3d7, v28
	v_add_f32_e32 v28, v44, v22
	v_add_f32_e32 v28, v28, v18
	;; [unrolled: 1-line block ×3, first 2 shown]
	v_fmac_f32_e32 v44, -0.5, v18
	v_sub_f32_e32 v18, v50, v34
	v_mov_b32_e32 v22, v44
	v_fmac_f32_e32 v22, 0x3f5db3d7, v18
	v_fmac_f32_e32 v44, 0xbf5db3d7, v18
	v_add_f32_e32 v77, v77, v115
	v_add_f32_e32 v115, v60, v27
	v_sub_f32_e32 v27, v60, v27
	v_add_f32_e32 v20, v20, v34
	v_mul_f32_e32 v34, 0xbf5db3d7, v22
	v_mul_f32_e32 v60, 0xbf5db3d7, v44
	v_mul_f32_e32 v22, 0.5, v22
	v_mul_f32_e32 v44, -0.5, v44
	v_fmac_f32_e32 v22, 0x3f5db3d7, v45
	v_fmac_f32_e32 v44, 0x3f5db3d7, v29
	v_fmac_f32_e32 v60, -0.5, v29
	v_add_f32_e32 v120, v24, v22
	v_add_f32_e32 v29, v26, v44
	v_sub_f32_e32 v22, v24, v22
	v_sub_f32_e32 v24, v26, v44
	v_mov_b32_e32 v26, 2
	v_fmac_f32_e32 v34, 0.5, v45
	v_lshlrev_b32_sdwa v6, v26, v6 dst_sel:DWORD dst_unused:UNUSED_PAD src0_sel:DWORD src1_sel:BYTE_0
	v_add_f32_e32 v18, v25, v20
	v_add_f32_e32 v50, v52, v34
	v_sub_f32_e32 v20, v25, v20
	v_sub_f32_e32 v25, v52, v34
	v_add3_u32 v34, 0, v5, v6
	v_mul_u32_u24_e32 v5, 0xf0, v8
	v_lshlrev_b32_sdwa v6, v26, v10 dst_sel:DWORD dst_unused:UNUSED_PAD src0_sel:DWORD src1_sel:BYTE_0
	v_add3_u32 v10, 0, v5, v6
	v_mul_u32_u24_e32 v5, 0xf0, v12
	v_lshlrev_b32_sdwa v6, v26, v36 dst_sel:DWORD dst_unused:UNUSED_PAD src0_sel:DWORD src1_sel:BYTE_0
	v_fmac_f32_e32 v84, 0.5, v83
	v_add3_u32 v12, 0, v5, v6
	v_mul_u32_u24_e32 v5, 0xf0, v40
	v_lshlrev_b32_sdwa v6, v26, v41 dst_sel:DWORD dst_unused:UNUSED_PAD src0_sel:DWORD src1_sel:BYTE_0
	v_add_f32_e32 v92, v63, v90
	v_sub_f32_e32 v63, v63, v90
	v_add_f32_e32 v32, v59, v77
	v_add_f32_e32 v90, v75, v84
	v_add_f32_e32 v103, v16, v93
	v_sub_f32_e32 v16, v16, v93
	s_waitcnt lgkmcnt(0)
	; wave barrier
	ds_write2_b32 v34, v74, v80 offset1:10
	ds_write2_b32 v34, v82, v30 offset0:20 offset1:30
	ds_write2_b32 v34, v38, v15 offset0:40 offset1:50
	v_add3_u32 v15, 0, v5, v6
	v_mul_u32_u24_e32 v5, 0xf0, v42
	v_lshlrev_b32_e32 v6, 2, v43
	v_sub_f32_e32 v59, v59, v77
	v_sub_f32_e32 v75, v75, v84
	v_add_f32_e32 v77, v13, v76
	v_sub_f32_e32 v13, v13, v76
	ds_write2_b32 v10, v81, v85 offset1:10
	ds_write2_b32 v10, v91, v51 offset0:20 offset1:30
	ds_write2_b32 v10, v62, v61 offset0:40 offset1:50
	ds_write2_b32 v12, v31, v92 offset1:10
	ds_write2_b32 v12, v98, v56 offset0:20 offset1:30
	ds_write2_b32 v12, v63, v7 offset0:40 offset1:50
	;; [unrolled: 3-line block ×3, first 2 shown]
	v_add3_u32 v16, 0, v5, v6
	v_mul_u32_u24_e32 v5, 0xf0, v105
	v_lshlrev_b32_e32 v6, 2, v106
	v_add_f32_e32 v64, v14, v60
	v_sub_f32_e32 v14, v14, v60
	ds_write2_b32 v16, v17, v54 offset1:10
	ds_write2_b32 v16, v77, v23 offset0:20 offset1:30
	ds_write2_b32 v16, v46, v13 offset0:40 offset1:50
	v_add3_u32 v13, 0, v5, v6
	v_add_f32_e32 v119, v49, v28
	v_sub_f32_e32 v28, v49, v28
	ds_write2_b32 v13, v18, v50 offset1:10
	ds_write2_b32 v13, v64, v20 offset0:20 offset1:30
	ds_write2_b32 v13, v25, v14 offset0:40 offset1:50
	s_waitcnt lgkmcnt(0)
	; wave barrier
	s_waitcnt lgkmcnt(0)
	ds_read2_b32 v[7:8], v0 offset1:180
	ds_read2_b32 v[40:41], v47 offset0:104 offset1:164
	ds_read2_b32 v[43:44], v35 offset0:80 offset1:140
	;; [unrolled: 1-line block ×5, first 2 shown]
	ds_read_b32 v121, v69
	ds_read_b32 v14, v70
	ds_read2_b32 v[61:62], v66 offset0:96 offset1:156
	ds_read2_b32 v[63:64], v71 offset0:72 offset1:132
	ds_read2_b32 v[74:75], v57 offset0:176 offset1:236
	ds_read2_b32 v[76:77], v72 offset0:24 offset1:84
	ds_read2_b32 v[78:79], v58 offset0:128 offset1:188
	ds_read2_b32 v[5:6], v68 offset0:112 offset1:172
	ds_read2_b32 v[80:81], v67 offset0:88 offset1:148
	ds_read2_b32 v[82:83], v71 offset0:192 offset1:252
	ds_read2_b32 v[84:85], v65 offset0:40 offset1:100
	ds_read2_b32 v[90:91], v72 offset0:144 offset1:204
	ds_read2_b32 v[92:93], v73 offset0:120 offset1:180
	s_waitcnt lgkmcnt(0)
	; wave barrier
	s_waitcnt lgkmcnt(0)
	ds_write2_b32 v34, v86, v99 offset1:10
	ds_write2_b32 v34, v111, v37 offset0:20 offset1:30
	ds_write2_b32 v34, v55, v117 offset0:40 offset1:50
	ds_write2_b32 v10, v94, v95 offset1:10
	ds_write2_b32 v10, v112, v113 offset0:20 offset1:30
	ds_write2_b32 v10, v118, v33 offset0:40 offset1:50
	;; [unrolled: 3-line block ×6, first 2 shown]
	v_mul_u32_u24_e32 v10, 5, v87
	v_lshlrev_b32_e32 v10, 3, v10
	s_waitcnt lgkmcnt(0)
	; wave barrier
	s_waitcnt lgkmcnt(0)
	global_load_dwordx4 v[15:18], v10, s[12:13] offset:400
	global_load_dwordx4 v[19:22], v10, s[12:13] offset:416
	v_mul_lo_u16_sdwa v12, v89, s0 dst_sel:DWORD dst_unused:UNUSED_PAD src0_sel:BYTE_0 src1_sel:DWORD
	v_lshrrev_b16_e32 v12, 13, v12
	v_mul_lo_u16_e32 v12, 60, v12
	v_sub_u16_e32 v12, v89, v12
	v_and_b32_e32 v12, 0xff, v12
	v_mul_u32_u24_e32 v13, 5, v12
	v_lshlrev_b32_e32 v42, 3, v13
	v_mul_lo_u16_sdwa v13, v39, s0 dst_sel:DWORD dst_unused:UNUSED_PAD src0_sel:BYTE_0 src1_sel:DWORD
	v_lshrrev_b16_e32 v13, 13, v13
	v_mul_lo_u16_e32 v13, 60, v13
	global_load_dwordx4 v[23:26], v42, s[12:13] offset:400
	v_sub_u16_e32 v13, v39, v13
	v_and_b32_e32 v13, 0xff, v13
	v_mul_u32_u24_e32 v27, 5, v13
	v_lshlrev_b32_e32 v50, 3, v27
	global_load_dwordx4 v[27:30], v50, s[12:13] offset:400
	global_load_dwordx2 v[94:95], v10, s[12:13] offset:432
	global_load_dwordx4 v[31:34], v50, s[12:13] offset:416
	ds_read2_b32 v[96:97], v0 offset1:180
	ds_read2_b32 v[48:49], v47 offset0:104 offset1:164
	ds_read2_b32 v[53:54], v35 offset0:80 offset1:140
	global_load_dwordx2 v[98:99], v42, s[12:13] offset:432
	global_load_dwordx4 v[36:39], v42, s[12:13] offset:416
	s_mov_b32 s0, 0x8889
	ds_read2_b32 v[55:56], v57 offset0:56 offset1:116
	ds_read2_b32 v[100:101], v65 offset0:160 offset1:220
	ds_read2_b32 v[102:103], v58 offset0:8 offset1:68
	ds_read_b32 v86, v69
	ds_read_b32 v110, v70
	ds_read2_b32 v[104:105], v66 offset0:96 offset1:156
	ds_read2_b32 v[106:107], v71 offset0:72 offset1:132
	global_load_dwordx2 v[108:109], v50, s[12:13] offset:432
	v_lshl_add_u32 v13, v13, 2, 0
	s_waitcnt vmcnt(8) lgkmcnt(8)
	v_mul_f32_e32 v111, v48, v16
	v_fmac_f32_e32 v111, v40, v15
	v_mul_f32_e32 v40, v40, v16
	v_mul_f32_e32 v118, v49, v16
	;; [unrolled: 1-line block ×3, first 2 shown]
	v_fma_f32 v112, v48, v15, -v40
	v_fmac_f32_e32 v118, v41, v15
	v_fma_f32 v119, v49, v15, -v16
	v_mul_u32_u24_sdwa v15, v11, s0 dst_sel:DWORD dst_unused:UNUSED_PAD src0_sel:WORD_0 src1_sel:DWORD
	v_lshrrev_b32_e32 v15, 21, v15
	v_mul_lo_u16_e32 v15, 60, v15
	v_mul_f32_e32 v40, v43, v18
	v_sub_u16_e32 v11, v11, v15
	s_waitcnt lgkmcnt(7)
	v_fma_f32 v114, v53, v17, -v40
	s_waitcnt vmcnt(7)
	v_mul_f32_e32 v40, v45, v20
	v_mul_u32_u24_e32 v15, 5, v11
	v_mul_f32_e32 v113, v53, v18
	s_waitcnt lgkmcnt(6)
	v_mul_f32_e32 v115, v55, v20
	v_fma_f32 v116, v55, v19, -v40
	s_waitcnt lgkmcnt(5)
	v_mul_f32_e32 v117, v100, v22
	v_mul_f32_e32 v40, v51, v22
	v_mul_f32_e32 v120, v54, v18
	v_lshlrev_b32_e32 v15, 3, v15
	v_fmac_f32_e32 v113, v43, v17
	v_fmac_f32_e32 v115, v45, v19
	;; [unrolled: 1-line block ×3, first 2 shown]
	v_fma_f32 v100, v100, v21, -v40
	global_load_dwordx4 v[40:43], v15, s[12:13] offset:400
	v_fmac_f32_e32 v120, v44, v17
	v_mul_f32_e32 v16, v44, v18
	global_load_dwordx2 v[44:45], v15, s[12:13] offset:432
	global_load_dwordx4 v[48:51], v15, s[12:13] offset:416
	v_mul_u32_u24_sdwa v15, v9, s0 dst_sel:DWORD dst_unused:UNUSED_PAD src0_sel:WORD_0 src1_sel:DWORD
	v_lshrrev_b32_e32 v15, 21, v15
	v_mul_lo_u16_e32 v15, 60, v15
	v_fma_f32 v122, v54, v17, -v16
	v_mul_f32_e32 v123, v56, v20
	v_mul_f32_e32 v16, v46, v20
	v_sub_u16_e32 v15, v9, v15
	v_fmac_f32_e32 v123, v46, v19
	v_fma_f32 v46, v56, v19, -v16
	v_mul_u32_u24_e32 v16, 5, v15
	v_mul_f32_e32 v56, v101, v22
	v_mul_f32_e32 v20, v52, v22
	v_lshlrev_b32_e32 v124, 3, v16
	s_waitcnt vmcnt(9) lgkmcnt(1)
	v_mul_f32_e32 v125, v104, v24
	v_mul_f32_e32 v22, v61, v24
	v_fmac_f32_e32 v56, v52, v21
	global_load_dwordx4 v[16:19], v124, s[12:13] offset:416
	global_load_dwordx4 v[52:55], v124, s[12:13] offset:400
	v_fmac_f32_e32 v125, v61, v23
	v_fma_f32 v61, v104, v23, -v22
	s_waitcnt lgkmcnt(0)
	v_mul_f32_e32 v104, v106, v26
	v_mul_f32_e32 v22, v63, v26
	v_fmac_f32_e32 v104, v63, v25
	v_fma_f32 v63, v106, v25, -v22
	s_waitcnt vmcnt(10)
	v_mul_f32_e32 v106, v105, v28
	v_mul_f32_e32 v24, v62, v28
	v_fmac_f32_e32 v106, v62, v27
	v_fma_f32 v62, v105, v27, -v24
	global_load_dwordx2 v[24:25], v124, s[12:13] offset:432
	v_fma_f32 v101, v101, v21, -v20
	ds_read2_b32 v[20:21], v57 offset0:176 offset1:236
	ds_read2_b32 v[22:23], v72 offset0:24 offset1:84
	v_mul_f32_e32 v105, v107, v30
	v_mul_f32_e32 v28, v64, v30
	ds_read2_b32 v[26:27], v58 offset0:128 offset1:188
	v_fmac_f32_e32 v105, v64, v29
	v_fma_f32 v64, v107, v29, -v28
	s_waitcnt vmcnt(7) lgkmcnt(2)
	v_mul_f32_e32 v107, v20, v37
	v_mul_f32_e32 v30, v74, v37
	v_fmac_f32_e32 v107, v74, v36
	v_fma_f32 v74, v20, v36, -v30
	s_waitcnt lgkmcnt(1)
	v_mul_f32_e32 v124, v22, v39
	v_mul_f32_e32 v20, v76, v39
	;; [unrolled: 1-line block ×3, first 2 shown]
	v_fmac_f32_e32 v124, v76, v38
	v_fma_f32 v76, v22, v38, -v20
	v_fmac_f32_e32 v126, v75, v31
	v_mul_f32_e32 v20, v75, v32
	v_mul_f32_e32 v75, v23, v34
	v_fmac_f32_e32 v75, v77, v33
	v_mul_f32_e32 v22, v77, v34
	v_mul_f32_e32 v34, v102, v95
	v_mul_f32_e32 v77, v103, v95
	v_fmac_f32_e32 v34, v59, v94
	v_mul_f32_e32 v59, v59, v95
	v_fmac_f32_e32 v77, v60, v94
	v_mul_f32_e32 v60, v60, v95
	ds_read2_b32 v[28:29], v68 offset0:112 offset1:172
	ds_read2_b32 v[36:37], v67 offset0:88 offset1:148
	;; [unrolled: 1-line block ×3, first 2 shown]
	v_fma_f32 v59, v102, v94, -v59
	v_fma_f32 v60, v103, v94, -v60
	s_waitcnt lgkmcnt(3)
	v_mul_f32_e32 v94, v26, v99
	v_fmac_f32_e32 v94, v78, v98
	v_mul_f32_e32 v78, v78, v99
	v_fma_f32 v32, v21, v31, -v20
	ds_read2_b32 v[20:21], v65 offset0:40 offset1:100
	v_fma_f32 v33, v23, v33, -v22
	ds_read2_b32 v[22:23], v72 offset0:144 offset1:204
	ds_read2_b32 v[30:31], v73 offset0:120 offset1:180
	v_fma_f32 v26, v26, v98, -v78
	s_waitcnt vmcnt(6)
	v_mul_f32_e32 v78, v27, v109
	v_fmac_f32_e32 v78, v79, v108
	v_mul_f32_e32 v79, v79, v109
	v_fma_f32 v27, v27, v108, -v79
	s_waitcnt lgkmcnt(0)
	; wave barrier
	s_waitcnt vmcnt(5) lgkmcnt(0)
	v_mul_f32_e32 v79, v36, v41
	v_mul_f32_e32 v41, v80, v41
	v_fmac_f32_e32 v79, v80, v40
	v_fma_f32 v36, v36, v40, -v41
	v_mul_f32_e32 v40, v38, v43
	v_mul_f32_e32 v41, v82, v43
	v_fmac_f32_e32 v40, v82, v42
	v_fma_f32 v38, v38, v42, -v41
	s_waitcnt vmcnt(3)
	v_mul_f32_e32 v42, v84, v49
	v_mul_f32_e32 v43, v90, v51
	v_mul_f32_e32 v41, v20, v49
	v_fma_f32 v20, v20, v48, -v42
	v_mul_f32_e32 v42, v22, v51
	v_fma_f32 v22, v22, v50, -v43
	v_mul_f32_e32 v43, v30, v45
	v_mul_f32_e32 v45, v92, v45
	v_fmac_f32_e32 v41, v84, v48
	v_fma_f32 v30, v30, v44, -v45
	v_fmac_f32_e32 v43, v92, v44
	v_fmac_f32_e32 v42, v90, v50
	s_waitcnt vmcnt(1)
	v_mul_f32_e32 v45, v81, v53
	v_mul_f32_e32 v48, v83, v55
	;; [unrolled: 1-line block ×3, first 2 shown]
	v_fma_f32 v37, v37, v52, -v45
	v_mul_f32_e32 v45, v39, v55
	v_fma_f32 v39, v39, v54, -v48
	v_mul_f32_e32 v48, v21, v17
	v_mul_f32_e32 v17, v85, v17
	v_fmac_f32_e32 v48, v85, v16
	v_fma_f32 v16, v21, v16, -v17
	v_mul_f32_e32 v17, v23, v19
	v_mul_f32_e32 v19, v91, v19
	s_waitcnt vmcnt(0)
	v_mul_f32_e32 v21, v93, v25
	v_fmac_f32_e32 v17, v91, v18
	v_fma_f32 v18, v23, v18, -v19
	v_mul_f32_e32 v19, v31, v25
	v_fma_f32 v21, v31, v24, -v21
	v_add_f32_e32 v31, v114, v100
	v_fma_f32 v31, -0.5, v31, v96
	v_sub_f32_e32 v49, v113, v117
	v_mov_b32_e32 v50, v31
	v_add_f32_e32 v51, v115, v34
	v_fmac_f32_e32 v50, 0x3f5db3d7, v49
	v_fmac_f32_e32 v31, 0xbf5db3d7, v49
	v_add_f32_e32 v49, v111, v115
	v_fmac_f32_e32 v111, -0.5, v51
	v_fmac_f32_e32 v44, v81, v52
	v_fmac_f32_e32 v19, v93, v24
	v_add_f32_e32 v24, v113, v117
	v_sub_f32_e32 v51, v116, v59
	v_mov_b32_e32 v52, v111
	v_add_f32_e32 v53, v116, v59
	v_add_f32_e32 v23, v7, v113
	v_fma_f32 v7, -0.5, v24, v7
	v_add_f32_e32 v49, v49, v34
	v_fmac_f32_e32 v52, 0xbf5db3d7, v51
	v_fmac_f32_e32 v111, 0x3f5db3d7, v51
	v_add_f32_e32 v51, v112, v116
	v_fmac_f32_e32 v112, -0.5, v53
	v_sub_f32_e32 v34, v115, v34
	v_sub_f32_e32 v24, v114, v100
	v_mov_b32_e32 v25, v7
	v_mov_b32_e32 v53, v112
	v_fmac_f32_e32 v112, 0xbf5db3d7, v34
	v_fmac_f32_e32 v25, 0xbf5db3d7, v24
	;; [unrolled: 1-line block ×3, first 2 shown]
	v_add_f32_e32 v24, v96, v114
	v_mul_f32_e32 v82, -0.5, v112
	v_add_f32_e32 v23, v23, v117
	v_add_f32_e32 v24, v24, v100
	;; [unrolled: 1-line block ×3, first 2 shown]
	v_fmac_f32_e32 v53, 0x3f5db3d7, v34
	v_fmac_f32_e32 v82, 0x3f5db3d7, v111
	;; [unrolled: 1-line block ×3, first 2 shown]
	v_add_f32_e32 v34, v23, v49
	v_mul_f32_e32 v54, 0xbf5db3d7, v53
	v_add_f32_e32 v81, v24, v51
	v_mul_f32_e32 v53, 0.5, v53
	v_add_f32_e32 v83, v31, v82
	v_sub_f32_e32 v23, v23, v49
	v_sub_f32_e32 v49, v24, v51
	;; [unrolled: 1-line block ×3, first 2 shown]
	v_add_f32_e32 v31, v120, v56
	v_fmac_f32_e32 v54, 0.5, v52
	v_fmac_f32_e32 v53, 0x3f5db3d7, v52
	v_add_f32_e32 v24, v121, v120
	v_fmac_f32_e32 v121, -0.5, v31
	v_add_f32_e32 v55, v25, v54
	v_mul_f32_e32 v59, 0xbf5db3d7, v112
	v_add_f32_e32 v52, v50, v53
	v_sub_f32_e32 v25, v25, v54
	v_sub_f32_e32 v50, v50, v53
	;; [unrolled: 1-line block ×3, first 2 shown]
	v_mov_b32_e32 v53, v121
	v_add_f32_e32 v54, v122, v101
	v_fmac_f32_e32 v59, -0.5, v111
	v_fmac_f32_e32 v53, 0xbf5db3d7, v31
	v_fmac_f32_e32 v121, 0x3f5db3d7, v31
	v_add_f32_e32 v31, v86, v122
	v_fmac_f32_e32 v86, -0.5, v54
	v_add_f32_e32 v80, v7, v59
	v_sub_f32_e32 v7, v7, v59
	v_add_f32_e32 v24, v24, v56
	v_sub_f32_e32 v54, v120, v56
	v_mov_b32_e32 v56, v86
	v_add_f32_e32 v59, v123, v77
	v_fmac_f32_e32 v56, 0x3f5db3d7, v54
	v_fmac_f32_e32 v86, 0xbf5db3d7, v54
	v_add_f32_e32 v54, v118, v123
	v_fmac_f32_e32 v118, -0.5, v59
	v_sub_f32_e32 v59, v46, v60
	v_mov_b32_e32 v82, v118
	v_fmac_f32_e32 v82, 0xbf5db3d7, v59
	v_fmac_f32_e32 v118, 0x3f5db3d7, v59
	v_add_f32_e32 v59, v119, v46
	v_add_f32_e32 v46, v46, v60
	v_fmac_f32_e32 v119, -0.5, v46
	v_add_f32_e32 v59, v59, v60
	v_sub_f32_e32 v46, v123, v77
	v_mov_b32_e32 v60, v119
	v_fmac_f32_e32 v60, 0x3f5db3d7, v46
	v_add_f32_e32 v54, v54, v77
	v_mul_f32_e32 v77, 0xbf5db3d7, v60
	v_mul_f32_e32 v60, 0.5, v60
	v_fmac_f32_e32 v119, 0xbf5db3d7, v46
	v_fmac_f32_e32 v60, 0x3f5db3d7, v82
	v_add_f32_e32 v31, v31, v101
	v_fmac_f32_e32 v77, 0.5, v82
	v_mul_f32_e32 v85, 0xbf5db3d7, v119
	v_add_f32_e32 v82, v56, v60
	v_sub_f32_e32 v60, v56, v60
	v_add_f32_e32 v56, v104, v124
	v_fmac_f32_e32 v85, -0.5, v118
	v_add_f32_e32 v91, v31, v59
	v_sub_f32_e32 v59, v31, v59
	v_add_f32_e32 v31, v14, v104
	v_fmac_f32_e32 v14, -0.5, v56
	v_add_f32_e32 v46, v24, v54
	v_add_f32_e32 v90, v121, v85
	v_sub_f32_e32 v24, v24, v54
	v_sub_f32_e32 v54, v121, v85
	;; [unrolled: 1-line block ×3, first 2 shown]
	v_mov_b32_e32 v85, v14
	v_mul_f32_e32 v92, -0.5, v119
	v_fmac_f32_e32 v85, 0xbf5db3d7, v56
	v_fmac_f32_e32 v14, 0x3f5db3d7, v56
	v_add_f32_e32 v56, v110, v63
	v_add_f32_e32 v63, v63, v76
	v_fmac_f32_e32 v92, 0x3f5db3d7, v118
	v_fmac_f32_e32 v110, -0.5, v63
	v_add_f32_e32 v84, v53, v77
	v_add_f32_e32 v93, v86, v92
	v_sub_f32_e32 v53, v53, v77
	v_sub_f32_e32 v77, v86, v92
	v_add_f32_e32 v56, v56, v76
	v_sub_f32_e32 v63, v104, v124
	v_mov_b32_e32 v76, v110
	v_add_f32_e32 v86, v107, v94
	v_fmac_f32_e32 v76, 0x3f5db3d7, v63
	v_fmac_f32_e32 v110, 0xbf5db3d7, v63
	v_add_f32_e32 v63, v125, v107
	v_fmac_f32_e32 v125, -0.5, v86
	v_sub_f32_e32 v86, v74, v26
	v_mov_b32_e32 v92, v125
	v_fmac_f32_e32 v92, 0xbf5db3d7, v86
	v_fmac_f32_e32 v125, 0x3f5db3d7, v86
	v_add_f32_e32 v86, v61, v74
	v_add_f32_e32 v86, v86, v26
	;; [unrolled: 1-line block ×3, first 2 shown]
	v_fmac_f32_e32 v61, -0.5, v26
	v_sub_f32_e32 v26, v107, v94
	v_mov_b32_e32 v74, v61
	v_fmac_f32_e32 v74, 0x3f5db3d7, v26
	v_fmac_f32_e32 v61, 0xbf5db3d7, v26
	v_add_f32_e32 v63, v63, v94
	v_mul_f32_e32 v94, 0xbf5db3d7, v74
	v_mul_f32_e32 v96, 0xbf5db3d7, v61
	v_mul_f32_e32 v61, -0.5, v61
	v_add_f32_e32 v31, v31, v124
	v_fmac_f32_e32 v94, 0.5, v92
	v_fmac_f32_e32 v61, 0x3f5db3d7, v125
	v_add_f32_e32 v26, v31, v63
	v_add_f32_e32 v95, v85, v94
	;; [unrolled: 1-line block ×3, first 2 shown]
	v_mul_f32_e32 v74, 0.5, v74
	v_add_f32_e32 v100, v110, v61
	v_sub_f32_e32 v31, v31, v63
	v_sub_f32_e32 v63, v85, v94
	;; [unrolled: 1-line block ×4, first 2 shown]
	v_add_f32_e32 v61, v105, v75
	v_fmac_f32_e32 v74, 0x3f5db3d7, v92
	v_add_f32_e32 v56, v8, v105
	v_fmac_f32_e32 v8, -0.5, v61
	v_add_f32_e32 v92, v76, v74
	v_sub_f32_e32 v76, v76, v74
	v_sub_f32_e32 v61, v64, v33
	v_mov_b32_e32 v74, v8
	v_fmac_f32_e32 v74, 0xbf5db3d7, v61
	v_fmac_f32_e32 v8, 0x3f5db3d7, v61
	v_add_f32_e32 v61, v97, v64
	v_add_f32_e32 v61, v61, v33
	;; [unrolled: 1-line block ×3, first 2 shown]
	v_fmac_f32_e32 v97, -0.5, v33
	v_add_f32_e32 v56, v56, v75
	v_sub_f32_e32 v33, v105, v75
	v_mov_b32_e32 v64, v97
	v_add_f32_e32 v75, v126, v78
	v_fmac_f32_e32 v64, 0x3f5db3d7, v33
	v_fmac_f32_e32 v97, 0xbf5db3d7, v33
	v_add_f32_e32 v33, v106, v126
	v_fmac_f32_e32 v106, -0.5, v75
	v_sub_f32_e32 v75, v32, v27
	v_mov_b32_e32 v94, v106
	v_fmac_f32_e32 v94, 0xbf5db3d7, v75
	v_fmac_f32_e32 v106, 0x3f5db3d7, v75
	v_add_f32_e32 v75, v62, v32
	v_add_f32_e32 v75, v75, v27
	;; [unrolled: 1-line block ×3, first 2 shown]
	v_fmac_f32_e32 v62, -0.5, v27
	v_sub_f32_e32 v27, v126, v78
	v_mov_b32_e32 v32, v62
	v_fmac_f32_e32 v32, 0x3f5db3d7, v27
	v_add_f32_e32 v33, v33, v78
	v_fmac_f32_e32 v62, 0xbf5db3d7, v27
	v_mul_f32_e32 v78, 0xbf5db3d7, v32
	v_fmac_f32_e32 v96, -0.5, v125
	v_fmac_f32_e32 v78, 0.5, v94
	v_mul_f32_e32 v101, 0xbf5db3d7, v62
	v_mul_f32_e32 v32, 0.5, v32
	v_add_f32_e32 v98, v14, v96
	v_sub_f32_e32 v14, v14, v96
	v_add_f32_e32 v27, v56, v33
	v_add_f32_e32 v96, v74, v78
	v_fmac_f32_e32 v101, -0.5, v106
	v_add_f32_e32 v103, v61, v75
	v_fmac_f32_e32 v32, 0x3f5db3d7, v94
	v_mul_f32_e32 v62, -0.5, v62
	v_sub_f32_e32 v33, v56, v33
	v_sub_f32_e32 v56, v74, v78
	;; [unrolled: 1-line block ×3, first 2 shown]
	v_add_f32_e32 v61, v40, v42
	v_add_f32_e32 v102, v8, v101
	;; [unrolled: 1-line block ×3, first 2 shown]
	v_fmac_f32_e32 v62, 0x3f5db3d7, v106
	v_sub_f32_e32 v8, v8, v101
	v_sub_f32_e32 v101, v64, v32
	v_add_f32_e32 v32, v5, v40
	v_fma_f32 v5, -0.5, v61, v5
	v_add_f32_e32 v104, v97, v62
	v_sub_f32_e32 v97, v97, v62
	v_sub_f32_e32 v61, v38, v22
	v_mov_b32_e32 v62, v5
	v_fmac_f32_e32 v62, 0xbf5db3d7, v61
	v_fmac_f32_e32 v5, 0x3f5db3d7, v61
	v_add_f32_e32 v61, v28, v38
	v_add_f32_e32 v61, v61, v22
	;; [unrolled: 1-line block ×3, first 2 shown]
	v_fma_f32 v22, -0.5, v22, v28
	v_sub_f32_e32 v28, v40, v42
	v_mov_b32_e32 v38, v22
	v_add_f32_e32 v40, v41, v43
	v_fmac_f32_e32 v38, 0x3f5db3d7, v28
	v_fmac_f32_e32 v22, 0xbf5db3d7, v28
	v_add_f32_e32 v28, v79, v41
	v_fmac_f32_e32 v79, -0.5, v40
	v_add_f32_e32 v32, v32, v42
	v_sub_f32_e32 v40, v20, v30
	v_mov_b32_e32 v42, v79
	v_fmac_f32_e32 v42, 0xbf5db3d7, v40
	v_fmac_f32_e32 v79, 0x3f5db3d7, v40
	v_add_f32_e32 v40, v36, v20
	v_add_f32_e32 v20, v20, v30
	v_fmac_f32_e32 v36, -0.5, v20
	v_sub_f32_e32 v20, v41, v43
	v_add_f32_e32 v40, v40, v30
	v_mov_b32_e32 v30, v36
	v_fmac_f32_e32 v36, 0xbf5db3d7, v20
	v_mul_f32_e32 v64, 0xbf5db3d7, v36
	v_mul_f32_e32 v36, -0.5, v36
	v_fmac_f32_e32 v30, 0x3f5db3d7, v20
	v_fmac_f32_e32 v36, 0x3f5db3d7, v79
	v_mul_f32_e32 v41, 0xbf5db3d7, v30
	v_fmac_f32_e32 v64, -0.5, v79
	v_mul_f32_e32 v30, 0.5, v30
	v_add_f32_e32 v79, v22, v36
	v_sub_f32_e32 v106, v22, v36
	v_add_f32_e32 v36, v45, v17
	v_fmac_f32_e32 v30, 0x3f5db3d7, v42
	v_add_f32_e32 v22, v6, v45
	v_fmac_f32_e32 v6, -0.5, v36
	v_fmac_f32_e32 v41, 0.5, v42
	v_add_f32_e32 v42, v38, v30
	v_sub_f32_e32 v30, v38, v30
	v_sub_f32_e32 v36, v39, v18
	v_mov_b32_e32 v38, v6
	v_fmac_f32_e32 v38, 0xbf5db3d7, v36
	v_fmac_f32_e32 v6, 0x3f5db3d7, v36
	v_add_f32_e32 v36, v29, v39
	v_add_f32_e32 v36, v36, v18
	;; [unrolled: 1-line block ×3, first 2 shown]
	v_fmac_f32_e32 v29, -0.5, v18
	v_add_f32_e32 v22, v22, v17
	v_sub_f32_e32 v17, v45, v17
	v_mov_b32_e32 v18, v29
	v_add_f32_e32 v39, v48, v19
	v_add_f32_e32 v28, v28, v43
	v_fmac_f32_e32 v18, 0x3f5db3d7, v17
	v_fmac_f32_e32 v29, 0xbf5db3d7, v17
	v_add_f32_e32 v17, v44, v48
	v_fmac_f32_e32 v44, -0.5, v39
	v_add_f32_e32 v20, v32, v28
	v_add_f32_e32 v43, v62, v41
	;; [unrolled: 1-line block ×3, first 2 shown]
	v_sub_f32_e32 v28, v32, v28
	v_sub_f32_e32 v32, v62, v41
	;; [unrolled: 1-line block ×4, first 2 shown]
	v_mov_b32_e32 v40, v44
	v_fmac_f32_e32 v40, 0xbf5db3d7, v39
	v_fmac_f32_e32 v44, 0x3f5db3d7, v39
	v_add_f32_e32 v39, v37, v16
	v_add_f32_e32 v16, v16, v21
	ds_write2_b32 v0, v34, v55 offset1:60
	ds_write2_b32 v0, v80, v23 offset0:120 offset1:180
	ds_write2_b32 v68, v25, v7 offset0:112 offset1:172
	;; [unrolled: 1-line block ×5, first 2 shown]
	v_lshl_add_u32 v7, v12, 2, 0
	v_fmac_f32_e32 v37, -0.5, v16
	v_add_u32_e32 v12, 0xa00, v7
	v_add_u32_e32 v7, 0xc00, v7
	v_add_f32_e32 v17, v17, v19
	v_sub_f32_e32 v16, v48, v19
	v_mov_b32_e32 v19, v37
	ds_write2_b32 v12, v26, v95 offset0:80 offset1:140
	ds_write2_b32 v7, v98, v31 offset0:72 offset1:132
	;; [unrolled: 1-line block ×3, first 2 shown]
	v_add_u32_e32 v14, 0x1000, v13
	v_add_u32_e32 v13, 0x1400, v13
	v_fmac_f32_e32 v19, 0x3f5db3d7, v16
	v_fmac_f32_e32 v37, 0xbf5db3d7, v16
	ds_write2_b32 v14, v27, v96 offset0:56 offset1:116
	ds_write2_b32 v14, v102, v33 offset0:176 offset1:236
	ds_write2_b32 v13, v56, v8 offset0:40 offset1:100
	v_lshl_add_u32 v8, v11, 2, 0
	v_add_f32_e32 v74, v5, v64
	v_sub_f32_e32 v5, v5, v64
	v_add_f32_e32 v39, v39, v21
	v_mul_f32_e32 v21, 0xbf5db3d7, v19
	v_mul_f32_e32 v48, 0xbf5db3d7, v37
	v_add_u32_e32 v11, 0x1400, v8
	v_add_u32_e32 v8, 0x1800, v8
	v_fmac_f32_e32 v21, 0.5, v40
	v_fmac_f32_e32 v48, -0.5, v44
	v_mul_f32_e32 v19, 0.5, v19
	v_mul_f32_e32 v37, -0.5, v37
	ds_write2_b32 v11, v20, v43 offset0:160 offset1:220
	ds_write2_b32 v8, v74, v28 offset0:24 offset1:84
	;; [unrolled: 1-line block ×3, first 2 shown]
	v_lshl_add_u32 v5, v15, 2, 0
	v_add_f32_e32 v16, v22, v17
	v_add_f32_e32 v45, v38, v21
	;; [unrolled: 1-line block ×3, first 2 shown]
	v_fmac_f32_e32 v19, 0x3f5db3d7, v40
	v_fmac_f32_e32 v37, 0x3f5db3d7, v44
	v_sub_f32_e32 v17, v22, v17
	v_sub_f32_e32 v21, v38, v21
	;; [unrolled: 1-line block ×3, first 2 shown]
	v_add_u32_e32 v43, 0x1c00, v5
	v_add_u32_e32 v5, 0x1e00, v5
	v_add_f32_e32 v107, v36, v39
	v_add_f32_e32 v108, v18, v19
	;; [unrolled: 1-line block ×3, first 2 shown]
	v_sub_f32_e32 v48, v36, v39
	v_sub_f32_e32 v109, v18, v19
	v_sub_f32_e32 v29, v29, v37
	ds_write2_b32 v43, v16, v45 offset0:8 offset1:68
	ds_write2_b32 v43, v61, v17 offset0:128 offset1:188
	;; [unrolled: 1-line block ×3, first 2 shown]
	s_waitcnt lgkmcnt(0)
	; wave barrier
	s_waitcnt lgkmcnt(0)
	ds_read2_b32 v[27:28], v0 offset1:180
	ds_read2_b32 v[31:32], v47 offset0:104 offset1:164
	ds_read2_b32 v[39:40], v35 offset0:80 offset1:140
	ds_read2_b32 v[33:34], v57 offset0:56 offset1:116
	ds_read2_b32 v[37:38], v65 offset0:160 offset1:220
	ds_read2_b32 v[35:36], v58 offset0:8 offset1:68
	ds_read_b32 v74, v69
	ds_read_b32 v75, v70
	ds_read2_b32 v[53:54], v66 offset0:96 offset1:156
	ds_read2_b32 v[61:62], v71 offset0:72 offset1:132
	ds_read2_b32 v[55:56], v57 offset0:176 offset1:236
	ds_read2_b32 v[63:64], v72 offset0:24 offset1:84
	ds_read2_b32 v[57:58], v58 offset0:128 offset1:188
	ds_read2_b32 v[19:20], v68 offset0:112 offset1:172
	ds_read2_b32 v[15:16], v67 offset0:88 offset1:148
	ds_read2_b32 v[23:24], v71 offset0:192 offset1:252
	ds_read2_b32 v[17:18], v65 offset0:40 offset1:100
	ds_read2_b32 v[25:26], v72 offset0:144 offset1:204
	ds_read2_b32 v[21:22], v73 offset0:120 offset1:180
	s_waitcnt lgkmcnt(0)
	; wave barrier
	s_waitcnt lgkmcnt(0)
	ds_write2_b32 v0, v81, v52 offset1:60
	ds_write2_b32 v0, v83, v49 offset0:120 offset1:180
	ds_write2_b32 v68, v50, v51 offset0:112 offset1:172
	;; [unrolled: 1-line block ×17, first 2 shown]
	s_waitcnt lgkmcnt(0)
	; wave barrier
	s_waitcnt lgkmcnt(0)
	s_and_saveexec_b64 s[0:1], vcc
	s_cbranch_execz .LBB0_21
; %bb.20:
	v_mul_u32_u24_e32 v5, 5, v9
	v_lshlrev_b32_e32 v29, 3, v5
	global_load_dwordx4 v[5:8], v29, s[12:13] offset:2800
	global_load_dwordx4 v[11:14], v29, s[12:13] offset:2816
	global_load_dwordx2 v[49:50], v29, s[12:13] offset:2832
	v_mov_b32_e32 v44, 0xfffffed4
	v_mul_lo_u32 v41, s5, v3
	v_mul_lo_u32 v42, s4, v4
	v_mad_u64_u32 v[29:30], s[0:1], s4, v3, 0
	v_add_u32_e32 v3, 0x200, v0
	v_add_u32_e32 v4, 0x800, v0
	v_mov_b32_e32 v68, 0
	v_mad_u32_u24 v67, v9, 5, v44
	v_mov_b32_e32 v72, s13
	v_add_u32_e32 v73, 0xc00, v0
	v_add_u32_e32 v86, 0x1800, v0
	;; [unrolled: 1-line block ×4, first 2 shown]
	v_add_co_u32_e32 v59, vcc, s12, v10
	ds_read2_b32 v[65:66], v3 offset0:112 offset1:172
	ds_read2_b32 v[80:81], v73 offset0:192 offset1:252
	ds_read2_b32 v[82:83], v86 offset0:144 offset1:204
	ds_read2_b32 v[84:85], v4 offset0:88 offset1:148
	ds_read2_b32 v[90:91], v71 offset0:40 offset1:100
	ds_read2_b32 v[92:93], v43 offset0:120 offset1:180
	v_lshlrev_b64 v[3:4], 3, v[67:68]
	v_addc_co_u32_e32 v60, vcc, 0, v72, vcc
	v_add_co_u32_e32 v3, vcc, s12, v3
	v_addc_co_u32_e32 v4, vcc, v72, v4, vcc
	v_add3_u32 v30, v30, v42, v41
	global_load_dwordx2 v[94:95], v[3:4], off offset:2832
	global_load_dwordx4 v[41:44], v[3:4], off offset:2816
	global_load_dwordx4 v[45:48], v[3:4], off offset:2800
	v_add_u32_e32 v104, 0x1000, v0
	v_add_u32_e32 v105, 0x1c00, v0
	s_mov_b32 s0, 0x16c16c17
	v_lshlrev_b64 v[29:30], 3, v[29:30]
	s_movk_i32 s1, 0x870
	s_waitcnt vmcnt(5)
	v_mul_f32_e32 v3, v24, v8
	s_waitcnt vmcnt(4)
	v_mul_f32_e32 v4, v26, v14
	s_waitcnt lgkmcnt(4)
	v_mul_f32_e32 v10, v81, v8
	s_waitcnt lgkmcnt(1)
	v_mul_f32_e32 v52, v12, v91
	v_mul_f32_e32 v8, v18, v12
	s_waitcnt vmcnt(3)
	v_mul_f32_e32 v12, v22, v50
	v_mul_f32_e32 v14, v83, v14
	v_mul_f32_e32 v51, v6, v85
	s_waitcnt lgkmcnt(0)
	v_mul_f32_e32 v67, v50, v93
	v_mul_f32_e32 v6, v16, v6
	v_fma_f32 v3, v7, v81, -v3
	v_fma_f32 v4, v13, v83, -v4
	v_fmac_f32_e32 v10, v24, v7
	v_fma_f32 v7, v11, v91, -v8
	v_fma_f32 v8, v49, v93, -v12
	v_fmac_f32_e32 v14, v26, v13
	v_fmac_f32_e32 v51, v16, v5
	;; [unrolled: 1-line block ×4, first 2 shown]
	v_fma_f32 v5, v5, v85, -v6
	v_add_f32_e32 v6, v3, v4
	v_add_f32_e32 v16, v7, v8
	;; [unrolled: 1-line block ×3, first 2 shown]
	v_sub_f32_e32 v13, v7, v8
	v_sub_f32_e32 v18, v52, v67
	v_add_f32_e32 v22, v66, v3
	v_add_f32_e32 v7, v5, v7
	;; [unrolled: 1-line block ×3, first 2 shown]
	v_fma_f32 v49, -0.5, v6, v66
	v_fma_f32 v5, -0.5, v16, v5
	v_sub_f32_e32 v11, v10, v14
	v_fma_f32 v12, -0.5, v12, v51
	v_add_f32_e32 v16, v22, v4
	v_add_f32_e32 v22, v7, v8
	v_fma_f32 v24, -0.5, v24, v20
	v_mov_b32_e32 v50, v49
	v_mov_b32_e32 v7, v5
	v_fmac_f32_e32 v5, 0x3f5db3d7, v18
	v_sub_f32_e32 v26, v3, v4
	v_mov_b32_e32 v3, v12
	v_fmac_f32_e32 v49, 0x3f5db3d7, v11
	v_fmac_f32_e32 v12, 0xbf5db3d7, v13
	v_mov_b32_e32 v81, v24
	v_fmac_f32_e32 v50, 0xbf5db3d7, v11
	v_mul_f32_e32 v11, 0.5, v5
	v_fmac_f32_e32 v7, 0xbf5db3d7, v18
	v_fmac_f32_e32 v11, 0x3f5db3d7, v12
	;; [unrolled: 1-line block ×4, first 2 shown]
	v_mul_f32_e32 v26, 0xbf5db3d7, v5
	v_add_f32_e32 v5, v20, v10
	v_fmac_f32_e32 v3, 0x3f5db3d7, v13
	v_mul_f32_e32 v13, -0.5, v7
	v_sub_f32_e32 v8, v49, v11
	v_fmac_f32_e32 v26, 0.5, v12
	v_add_f32_e32 v20, v5, v14
	v_add_f32_e32 v5, v51, v52
	;; [unrolled: 1-line block ×3, first 2 shown]
	v_mov_b32_e32 v11, 0xfffffda8
	v_fmac_f32_e32 v13, 0x3f5db3d7, v3
	v_add_f32_e32 v83, v5, v67
	v_mad_u32_u24 v67, v9, 5, v11
	v_sub_f32_e32 v4, v50, v13
	v_add_f32_e32 v10, v50, v13
	v_lshlrev_b64 v[13:14], 3, v[67:68]
	v_sub_f32_e32 v6, v16, v22
	v_add_co_u32_e32 v66, vcc, s12, v13
	v_addc_co_u32_e32 v67, vcc, v72, v14, vcc
	global_load_dwordx4 v[49:52], v[66:67], off offset:2816
	global_load_dwordx4 v[76:79], v[66:67], off offset:2800
	v_add_f32_e32 v14, v16, v22
	s_waitcnt vmcnt(2)
	v_mul_f32_e32 v16, v23, v48
	v_fma_f32 v22, v47, v80, -v16
	v_mul_f32_e32 v16, v25, v44
	v_mul_f32_e32 v48, v80, v48
	v_mul_f32_e32 v18, 0xbf5db3d7, v7
	v_sub_f32_e32 v7, v24, v26
	v_add_f32_e32 v11, v24, v26
	v_fma_f32 v24, v43, v82, -v16
	v_fmac_f32_e32 v48, v23, v47
	v_mul_f32_e32 v23, v82, v44
	v_mul_f32_e32 v44, v42, v90
	;; [unrolled: 1-line block ×3, first 2 shown]
	v_add_f32_e32 v16, v22, v24
	v_fmac_f32_e32 v23, v25, v43
	v_mul_f32_e32 v43, v46, v84
	v_fmac_f32_e32 v44, v17, v41
	v_fmac_f32_e32 v47, v21, v94
	v_fma_f32 v26, -0.5, v16, v65
	v_fmac_f32_e32 v43, v15, v45
	v_add_f32_e32 v16, v44, v47
	v_fma_f32 v80, -0.5, v16, v43
	v_mul_f32_e32 v16, v17, v42
	v_fma_f32 v17, v41, v90, -v16
	global_load_dwordx2 v[41:42], v[66:67], off offset:2832
	v_mul_f32_e32 v16, v21, v95
	v_sub_f32_e32 v5, v20, v83
	v_add_f32_e32 v13, v20, v83
	v_fma_f32 v20, v94, v92, -v16
	v_mul_f32_e32 v15, v15, v46
	v_fma_f32 v15, v45, v84, -v15
	v_add_f32_e32 v16, v17, v20
	v_fma_f32 v45, -0.5, v16, v15
	v_sub_f32_e32 v46, v44, v47
	v_mov_b32_e32 v66, v45
	v_add_f32_e32 v15, v15, v17
	v_fmac_f32_e32 v18, -0.5, v3
	v_fmac_f32_e32 v66, 0xbf5db3d7, v46
	v_fmac_f32_e32 v45, 0x3f5db3d7, v46
	v_add_f32_e32 v46, v65, v22
	v_add_f32_e32 v65, v15, v20
	v_add_f32_e32 v15, v48, v23
	v_sub_f32_e32 v3, v81, v18
	v_add_f32_e32 v9, v81, v18
	v_sub_f32_e32 v21, v17, v20
	v_mov_b32_e32 v81, v80
	v_fma_f32 v82, -0.5, v15, v19
	v_sub_f32_e32 v18, v48, v23
	v_mov_b32_e32 v25, v26
	v_fmac_f32_e32 v81, 0x3f5db3d7, v21
	v_mul_f32_e32 v67, -0.5, v66
	v_fmac_f32_e32 v80, 0xbf5db3d7, v21
	v_mul_f32_e32 v21, 0.5, v45
	v_sub_f32_e32 v17, v22, v24
	v_mov_b32_e32 v83, v82
	v_mul_f32_e32 v66, 0xbf5db3d7, v66
	v_add_f32_e32 v19, v19, v48
	v_fmac_f32_e32 v25, 0xbf5db3d7, v18
	v_fmac_f32_e32 v67, 0x3f5db3d7, v81
	;; [unrolled: 1-line block ×4, first 2 shown]
	v_add_f32_e32 v46, v46, v24
	v_fmac_f32_e32 v83, 0x3f5db3d7, v17
	v_fmac_f32_e32 v66, -0.5, v81
	v_add_f32_e32 v48, v19, v23
	v_add_f32_e32 v19, v43, v44
	v_sub_f32_e32 v16, v25, v67
	v_sub_f32_e32 v18, v26, v21
	;; [unrolled: 1-line block ×4, first 2 shown]
	v_add_f32_e32 v43, v19, v47
	v_add_f32_e32 v22, v25, v67
	;; [unrolled: 1-line block ×5, first 2 shown]
	ds_read2_b32 v[65:66], v0 offset1:180
	ds_read2_b32 v[84:85], v73 offset0:72 offset1:132
	v_mul_i32_i24_e32 v67, 5, v89
	v_sub_f32_e32 v19, v48, v43
	v_add_f32_e32 v25, v48, v43
	v_lshlrev_b64 v[43:44], 3, v[67:68]
	v_mul_f32_e32 v45, 0xbf5db3d7, v45
	v_fmac_f32_e32 v82, 0xbf5db3d7, v17
	v_fmac_f32_e32 v45, 0.5, v80
	v_add_co_u32_e32 v43, vcc, s12, v43
	v_sub_f32_e32 v17, v82, v45
	v_add_f32_e32 v23, v82, v45
	s_waitcnt vmcnt(1)
	v_mul_f32_e32 v45, v62, v79
	v_addc_co_u32_e32 v44, vcc, v72, v44, vcc
	ds_read2_b32 v[97:98], v86 offset0:24 offset1:84
	global_load_dwordx4 v[80:83], v[43:44], off offset:2800
	s_waitcnt lgkmcnt(1)
	v_fma_f32 v45, v78, v85, -v45
	v_mul_f32_e32 v48, v85, v79
	global_load_dwordx2 v[85:86], v[43:44], off offset:2832
	global_load_dwordx4 v[89:92], v[43:44], off offset:2816
	v_mul_f32_e32 v46, v64, v52
	v_add_u32_e32 v44, 0x600, v0
	ds_read2_b32 v[100:101], v104 offset0:176 offset1:236
	ds_read2_b32 v[102:103], v105 offset0:128 offset1:188
	s_waitcnt lgkmcnt(2)
	v_fma_f32 v47, v51, v98, -v46
	v_mul_f32_e32 v52, v98, v52
	ds_read2_b32 v[98:99], v44 offset0:96 offset1:156
	v_fmac_f32_e32 v52, v64, v51
	s_waitcnt lgkmcnt(2)
	v_mul_f32_e32 v64, v50, v101
	s_waitcnt vmcnt(3) lgkmcnt(1)
	v_mul_f32_e32 v73, v42, v103
	v_fmac_f32_e32 v48, v62, v78
	s_waitcnt lgkmcnt(0)
	v_mul_f32_e32 v62, v77, v99
	v_fmac_f32_e32 v64, v56, v49
	v_fmac_f32_e32 v73, v58, v41
	;; [unrolled: 1-line block ×3, first 2 shown]
	v_add_f32_e32 v44, v64, v73
	v_add_f32_e32 v46, v45, v47
	v_fma_f32 v78, -0.5, v44, v62
	v_mul_f32_e32 v44, v56, v50
	v_mul_f32_e32 v42, v58, v42
	v_fma_f32 v67, -0.5, v46, v66
	v_fma_f32 v46, v49, v101, -v44
	v_fma_f32 v41, v41, v103, -v42
	v_mul_f32_e32 v42, v54, v77
	v_fma_f32 v50, v76, v99, -v42
	v_add_f32_e32 v42, v46, v41
	v_sub_f32_e32 v43, v48, v52
	v_mov_b32_e32 v51, v67
	v_fma_f32 v54, -0.5, v42, v50
	v_sub_f32_e32 v56, v64, v73
	v_fmac_f32_e32 v51, 0xbf5db3d7, v43
	v_sub_f32_e32 v44, v46, v41
	v_mov_b32_e32 v58, v54
	v_fmac_f32_e32 v67, 0x3f5db3d7, v43
	v_fmac_f32_e32 v54, 0x3f5db3d7, v56
	v_add_f32_e32 v43, v66, v45
	v_mov_b32_e32 v49, v78
	v_fmac_f32_e32 v58, 0xbf5db3d7, v56
	v_fmac_f32_e32 v78, 0xbf5db3d7, v44
	v_mul_f32_e32 v56, 0.5, v54
	v_add_f32_e32 v66, v43, v47
	v_add_f32_e32 v43, v50, v46
	v_fmac_f32_e32 v56, 0x3f5db3d7, v78
	v_add_f32_e32 v77, v43, v41
	v_add_f32_e32 v41, v48, v52
	v_fmac_f32_e32 v49, 0x3f5db3d7, v44
	v_sub_f32_e32 v44, v67, v56
	v_fma_f32 v79, -0.5, v41, v28
	v_add_f32_e32 v28, v28, v48
	v_add_f32_e32 v50, v67, v56
	v_mul_i32_i24_e32 v67, 5, v88
	v_sub_f32_e32 v46, v66, v77
	v_add_f32_e32 v28, v28, v52
	v_add_f32_e32 v52, v66, v77
	v_lshlrev_b64 v[66:67], 3, v[67:68]
	v_mul_f32_e32 v76, -0.5, v58
	v_mul_f32_e32 v58, 0xbf5db3d7, v58
	v_fmac_f32_e32 v76, 0x3f5db3d7, v49
	v_sub_f32_e32 v43, v45, v47
	v_mov_b32_e32 v47, v79
	v_fmac_f32_e32 v58, -0.5, v49
	v_mul_f32_e32 v49, 0xbf5db3d7, v54
	v_add_co_u32_e32 v66, vcc, s12, v66
	v_fmac_f32_e32 v47, 0x3f5db3d7, v43
	v_fmac_f32_e32 v79, 0xbf5db3d7, v43
	v_fmac_f32_e32 v49, 0.5, v78
	v_addc_co_u32_e32 v67, vcc, v72, v67, vcc
	v_sub_f32_e32 v42, v51, v76
	v_sub_f32_e32 v41, v47, v58
	;; [unrolled: 1-line block ×3, first 2 shown]
	v_add_f32_e32 v45, v62, v64
	v_add_f32_e32 v48, v51, v76
	;; [unrolled: 1-line block ×4, first 2 shown]
	global_load_dwordx4 v[76:79], v[66:67], off offset:2816
	global_load_dwordx4 v[93:96], v[66:67], off offset:2800
	ds_read_b32 v58, v70
	ds_read_b32 v99, v69
	v_add_f32_e32 v54, v45, v73
	v_sub_f32_e32 v45, v28, v54
	v_add_f32_e32 v51, v28, v54
	s_waitcnt vmcnt(4)
	v_mul_f32_e32 v28, v61, v83
	s_waitcnt vmcnt(2)
	v_mul_f32_e32 v54, v63, v92
	v_mul_f32_e32 v70, v84, v83
	v_fma_f32 v28, v82, v84, -v28
	v_fma_f32 v62, v91, v97, -v54
	v_fmac_f32_e32 v70, v61, v82
	v_mul_f32_e32 v73, v90, v100
	v_mul_f32_e32 v82, v86, v102
	v_add_f32_e32 v54, v28, v62
	v_mul_f32_e32 v72, v81, v98
	v_fmac_f32_e32 v73, v55, v89
	v_fmac_f32_e32 v82, v57, v85
	s_waitcnt lgkmcnt(1)
	v_fma_f32 v64, -0.5, v54, v58
	v_fmac_f32_e32 v72, v53, v80
	v_add_f32_e32 v54, v73, v82
	global_load_dwordx2 v[68:69], v[66:67], off offset:2832
	v_fma_f32 v66, -0.5, v54, v72
	v_mul_f32_e32 v54, v55, v90
	v_fma_f32 v55, v89, v100, -v54
	v_mul_f32_e32 v54, v57, v86
	v_fma_f32 v57, v85, v102, -v54
	v_mul_f32_e32 v53, v53, v81
	v_mul_f32_e32 v61, v97, v92
	v_fma_f32 v53, v80, v98, -v53
	v_add_f32_e32 v54, v55, v57
	v_fmac_f32_e32 v61, v63, v91
	v_fma_f32 v80, -0.5, v54, v53
	v_add_f32_e32 v53, v53, v55
	v_add_f32_e32 v86, v53, v57
	;; [unrolled: 1-line block ×3, first 2 shown]
	v_sub_f32_e32 v81, v73, v82
	v_mov_b32_e32 v84, v80
	v_fma_f32 v88, -0.5, v53, v75
	v_sub_f32_e32 v67, v55, v57
	v_mov_b32_e32 v83, v66
	v_fmac_f32_e32 v84, 0xbf5db3d7, v81
	v_fmac_f32_e32 v80, 0x3f5db3d7, v81
	v_add_f32_e32 v58, v58, v28
	v_sub_f32_e32 v28, v28, v62
	v_mov_b32_e32 v89, v88
	v_sub_f32_e32 v56, v70, v61
	v_mov_b32_e32 v63, v64
	v_fmac_f32_e32 v83, 0x3f5db3d7, v67
	v_mul_f32_e32 v85, -0.5, v84
	v_fmac_f32_e32 v66, 0xbf5db3d7, v67
	v_fmac_f32_e32 v89, 0x3f5db3d7, v28
	;; [unrolled: 1-line block ×3, first 2 shown]
	v_mul_f32_e32 v28, 0xbf5db3d7, v80
	v_fmac_f32_e32 v63, 0xbf5db3d7, v56
	v_fmac_f32_e32 v85, 0x3f5db3d7, v83
	v_mul_f32_e32 v67, 0.5, v80
	v_mul_f32_e32 v84, 0xbf5db3d7, v84
	v_fmac_f32_e32 v28, 0.5, v66
	v_add_f32_e32 v57, v75, v70
	v_sub_f32_e32 v54, v63, v85
	v_fmac_f32_e32 v64, 0x3f5db3d7, v56
	v_fmac_f32_e32 v67, 0x3f5db3d7, v66
	v_add_f32_e32 v81, v58, v62
	v_fmac_f32_e32 v84, -0.5, v83
	v_sub_f32_e32 v55, v88, v28
	v_add_f32_e32 v66, v57, v61
	v_add_f32_e32 v57, v72, v73
	;; [unrolled: 1-line block ×4, first 2 shown]
	v_add_u32_e32 v28, 0xa00, v0
	v_sub_f32_e32 v56, v64, v67
	v_sub_f32_e32 v58, v81, v86
	;; [unrolled: 1-line block ×3, first 2 shown]
	v_add_f32_e32 v75, v57, v82
	v_add_f32_e32 v64, v64, v67
	;; [unrolled: 1-line block ×4, first 2 shown]
	ds_read2_b32 v[72:73], v28 offset0:80 offset1:140
	global_load_dwordx4 v[80:83], v[59:60], off offset:2816
	global_load_dwordx4 v[88:91], v[59:60], off offset:2800
	ds_read2_b32 v[70:71], v71 offset0:160 offset1:220
	global_load_dwordx2 v[59:60], v[59:60], off offset:2832
	v_sub_f32_e32 v57, v66, v75
	v_add_f32_e32 v66, v66, v75
	s_waitcnt vmcnt(4)
	v_mul_f32_e32 v28, v40, v96
	v_mul_f32_e32 v75, v38, v79
	s_waitcnt lgkmcnt(1)
	v_fma_f32 v28, v95, v73, -v28
	s_waitcnt lgkmcnt(0)
	v_fma_f32 v75, v78, v71, -v75
	v_add_f32_e32 v84, v28, v75
	v_mul_f32_e32 v73, v73, v96
	v_fma_f32 v92, -0.5, v84, v99
	v_fmac_f32_e32 v73, v40, v95
	v_mul_f32_e32 v40, v71, v79
	v_add_u32_e32 v0, 0x400, v0
	ds_read2_b32 v[84:85], v104 offset0:56 offset1:116
	ds_read2_b32 v[95:96], v105 offset0:8 offset1:68
	v_fmac_f32_e32 v40, v38, v78
	ds_read2_b32 v[78:79], v0 offset0:104 offset1:164
	v_sub_f32_e32 v38, v73, v40
	s_waitcnt lgkmcnt(2)
	v_mul_f32_e32 v97, v77, v85
	v_fmac_f32_e32 v97, v34, v76
	s_waitcnt vmcnt(3) lgkmcnt(1)
	v_mul_f32_e32 v98, v69, v96
	s_waitcnt lgkmcnt(0)
	v_mul_f32_e32 v0, v94, v79
	v_fmac_f32_e32 v98, v36, v68
	v_mul_f32_e32 v34, v34, v77
	v_mul_f32_e32 v36, v36, v69
	v_fmac_f32_e32 v0, v32, v93
	v_fma_f32 v34, v76, v85, -v34
	v_fma_f32 v36, v68, v96, -v36
	v_mul_f32_e32 v32, v32, v94
	v_fma_f32 v32, v93, v79, -v32
	v_add_f32_e32 v69, v34, v36
	v_add_f32_e32 v86, v97, v98
	v_fma_f32 v79, -0.5, v69, v32
	v_fma_f32 v100, -0.5, v86, v0
	v_sub_f32_e32 v68, v34, v36
	v_sub_f32_e32 v76, v97, v98
	v_mov_b32_e32 v85, v79
	v_add_f32_e32 v32, v32, v34
	v_add_f32_e32 v34, v73, v40
	v_mov_b32_e32 v77, v100
	v_fmac_f32_e32 v85, 0xbf5db3d7, v76
	v_fma_f32 v34, -0.5, v34, v74
	v_mov_b32_e32 v71, v92
	v_fmac_f32_e32 v77, 0x3f5db3d7, v68
	v_fmac_f32_e32 v100, 0xbf5db3d7, v68
	;; [unrolled: 1-line block ×3, first 2 shown]
	v_add_f32_e32 v68, v99, v28
	v_add_f32_e32 v32, v32, v36
	v_sub_f32_e32 v28, v28, v75
	v_mov_b32_e32 v36, v34
	v_mul_f32_e32 v96, 0xbf5db3d7, v85
	v_add_f32_e32 v73, v74, v73
	v_add_f32_e32 v0, v0, v97
	v_fmac_f32_e32 v71, 0xbf5db3d7, v38
	v_mul_f32_e32 v93, -0.5, v85
	v_fmac_f32_e32 v92, 0x3f5db3d7, v38
	v_mul_f32_e32 v38, 0.5, v79
	v_fmac_f32_e32 v36, 0x3f5db3d7, v28
	v_fmac_f32_e32 v96, -0.5, v77
	v_fmac_f32_e32 v34, 0xbf5db3d7, v28
	v_mul_f32_e32 v28, 0xbf5db3d7, v79
	v_add_f32_e32 v40, v73, v40
	v_add_f32_e32 v0, v0, v98
	v_fmac_f32_e32 v93, 0x3f5db3d7, v77
	v_fmac_f32_e32 v38, 0x3f5db3d7, v100
	v_add_f32_e32 v94, v68, v75
	v_sub_f32_e32 v68, v36, v96
	v_fmac_f32_e32 v28, 0.5, v100
	v_sub_f32_e32 v85, v40, v0
	v_add_f32_e32 v73, v36, v96
	v_add_f32_e32 v96, v40, v0
	v_sub_f32_e32 v69, v71, v93
	v_sub_f32_e32 v76, v92, v38
	;; [unrolled: 1-line block ×3, first 2 shown]
	v_add_f32_e32 v74, v71, v93
	v_add_f32_e32 v93, v92, v38
	;; [unrolled: 1-line block ×3, first 2 shown]
	s_waitcnt vmcnt(2)
	v_mul_f32_e32 v28, v37, v83
	s_waitcnt vmcnt(1)
	v_mul_f32_e32 v0, v39, v91
	v_fma_f32 v0, v90, v72, -v0
	v_mul_f32_e32 v38, v72, v91
	v_mul_f32_e32 v71, v81, v84
	s_waitcnt vmcnt(0)
	v_mul_f32_e32 v72, v60, v95
	v_fma_f32 v36, v82, v70, -v28
	v_fmac_f32_e32 v38, v39, v90
	v_mul_f32_e32 v39, v70, v83
	v_mul_f32_e32 v70, v89, v78
	v_fmac_f32_e32 v71, v33, v80
	v_fmac_f32_e32 v72, v35, v59
	v_sub_f32_e32 v86, v94, v32
	v_add_f32_e32 v97, v94, v32
	v_fmac_f32_e32 v70, v31, v88
	v_add_f32_e32 v32, v71, v72
	v_fma_f32 v77, -0.5, v32, v70
	v_mul_f32_e32 v32, v33, v81
	v_add_f32_e32 v28, v0, v36
	v_fma_f32 v33, v80, v84, -v32
	v_mul_f32_e32 v32, v35, v60
	v_fma_f32 v40, -0.5, v28, v65
	v_fmac_f32_e32 v39, v37, v82
	v_fma_f32 v35, v59, v95, -v32
	v_mul_f32_e32 v31, v31, v89
	v_sub_f32_e32 v28, v38, v39
	v_mov_b32_e32 v37, v40
	v_fma_f32 v31, v88, v78, -v31
	v_add_f32_e32 v32, v33, v35
	v_fmac_f32_e32 v37, 0xbf5db3d7, v28
	v_fma_f32 v60, -0.5, v32, v31
	v_fmac_f32_e32 v40, 0x3f5db3d7, v28
	v_add_f32_e32 v28, v65, v0
	v_sub_f32_e32 v78, v71, v72
	v_mov_b32_e32 v79, v60
	v_add_f32_e32 v65, v28, v36
	v_add_f32_e32 v28, v31, v33
	;; [unrolled: 1-line block ×3, first 2 shown]
	v_sub_f32_e32 v34, v33, v35
	v_mov_b32_e32 v59, v77
	v_fmac_f32_e32 v79, 0xbf5db3d7, v78
	v_fma_f32 v82, -0.5, v31, v27
	v_fmac_f32_e32 v59, 0x3f5db3d7, v34
	v_mul_f32_e32 v80, -0.5, v79
	v_fmac_f32_e32 v60, 0x3f5db3d7, v78
	v_sub_f32_e32 v0, v0, v36
	v_mov_b32_e32 v83, v82
	v_mul_f32_e32 v79, 0xbf5db3d7, v79
	v_fmac_f32_e32 v80, 0x3f5db3d7, v59
	v_fmac_f32_e32 v77, 0xbf5db3d7, v34
	v_mul_f32_e32 v78, 0.5, v60
	v_fmac_f32_e32 v83, 0x3f5db3d7, v0
	v_fmac_f32_e32 v79, -0.5, v59
	v_fmac_f32_e32 v82, 0xbf5db3d7, v0
	v_mul_f32_e32 v59, 0xbf5db3d7, v60
	v_add_f32_e32 v0, v27, v38
	v_fmac_f32_e32 v78, 0x3f5db3d7, v77
	v_fmac_f32_e32 v59, 0.5, v77
	v_add_f32_e32 v77, v0, v39
	v_lshrrev_b32_e32 v0, 3, v87
	v_mul_hi_u32 v0, v0, s0
	v_add_f32_e32 v81, v28, v35
	v_sub_f32_e32 v32, v37, v80
	v_add_f32_e32 v38, v37, v80
	v_lshrrev_b32_e32 v0, 2, v0
	v_mul_u32_u24_e32 v0, 0x168, v0
	v_sub_u32_e32 v84, v87, v0
	v_mad_u64_u32 v[35:36], s[4:5], s2, v84, 0
	v_add_co_u32_e32 v29, vcc, s10, v29
	v_mov_b32_e32 v0, v36
	v_mad_u64_u32 v[36:37], s[4:5], s3, v84, v[0:1]
	v_mov_b32_e32 v0, s11
	v_addc_co_u32_e32 v30, vcc, v0, v30, vcc
	v_lshlrev_b64 v[0:1], 3, v[1:2]
	v_sub_f32_e32 v28, v65, v81
	v_add_f32_e32 v60, v65, v81
	v_add_co_u32_e32 v0, vcc, v29, v0
	v_add_u32_e32 v65, 0x168, v84
	v_addc_co_u32_e32 v1, vcc, v30, v1, vcc
	v_lshlrev_b64 v[29:30], 3, v[35:36]
	v_mad_u64_u32 v[35:36], s[4:5], s2, v65, 0
	v_add_f32_e32 v27, v70, v71
	v_add_f32_e32 v70, v27, v72
	v_mov_b32_e32 v2, v36
	v_sub_f32_e32 v33, v82, v59
	v_sub_f32_e32 v27, v77, v70
	v_add_f32_e32 v39, v82, v59
	v_add_f32_e32 v59, v77, v70
	v_mad_u64_u32 v[70:71], s[4:5], s3, v65, v[2:3]
	v_add_u32_e32 v65, 0x2d0, v84
	v_mad_u64_u32 v[71:72], s[4:5], s2, v65, 0
	v_add_co_u32_e32 v29, vcc, v0, v29
	v_addc_co_u32_e32 v30, vcc, v1, v30, vcc
	v_mov_b32_e32 v36, v70
	global_store_dwordx2 v[29:30], v[59:60], off
	v_lshlrev_b64 v[29:30], 3, v[35:36]
	v_mov_b32_e32 v2, v72
	v_mad_u64_u32 v[35:36], s[4:5], s3, v65, v[2:3]
	v_add_co_u32_e32 v29, vcc, v0, v29
	v_sub_f32_e32 v34, v40, v78
	v_add_f32_e32 v40, v40, v78
	v_addc_co_u32_e32 v30, vcc, v1, v30, vcc
	global_store_dwordx2 v[29:30], v[39:40], off
	v_add_u32_e32 v39, 0x438, v84
	v_mov_b32_e32 v72, v35
	v_mad_u64_u32 v[35:36], s[4:5], s2, v39, 0
	v_lshlrev_b64 v[29:30], 3, v[71:72]
	v_add_f32_e32 v37, v83, v79
	v_mov_b32_e32 v2, v36
	v_mad_u64_u32 v[39:40], s[4:5], s3, v39, v[2:3]
	v_add_u32_e32 v40, 0x5a0, v84
	v_mad_u64_u32 v[59:60], s[4:5], s2, v40, 0
	v_add_co_u32_e32 v29, vcc, v0, v29
	v_addc_co_u32_e32 v30, vcc, v1, v30, vcc
	v_mov_b32_e32 v36, v39
	v_mov_b32_e32 v2, v60
	global_store_dwordx2 v[29:30], v[37:38], off
	v_lshlrev_b64 v[29:30], 3, v[35:36]
	v_mad_u64_u32 v[35:36], s[4:5], s3, v40, v[2:3]
	v_add_co_u32_e32 v29, vcc, v0, v29
	v_addc_co_u32_e32 v30, vcc, v1, v30, vcc
	v_mov_b32_e32 v60, v35
	v_add_u32_e32 v35, 0x708, v84
	v_add_u32_e32 v37, 60, v87
	global_store_dwordx2 v[29:30], v[27:28], off
	v_mad_u64_u32 v[29:30], s[4:5], s2, v35, 0
	v_lshrrev_b32_e32 v2, 3, v37
	v_mul_hi_u32 v38, v2, s0
	v_mov_b32_e32 v2, v30
	v_mad_u64_u32 v[35:36], s[4:5], s3, v35, v[2:3]
	v_lshrrev_b32_e32 v2, 2, v38
	v_mul_u32_u24_e32 v30, 0x168, v2
	v_sub_u32_e32 v30, v37, v30
	v_mad_u32_u24 v38, v2, s1, v30
	v_lshlrev_b64 v[27:28], 3, v[59:60]
	v_mad_u64_u32 v[36:37], s[4:5], s2, v38, 0
	v_add_co_u32_e32 v27, vcc, v0, v27
	v_addc_co_u32_e32 v28, vcc, v1, v28, vcc
	v_mov_b32_e32 v30, v35
	global_store_dwordx2 v[27:28], v[33:34], off
	v_lshlrev_b64 v[27:28], 3, v[29:30]
	v_mov_b32_e32 v2, v37
	v_mad_u64_u32 v[29:30], s[4:5], s3, v38, v[2:3]
	v_add_co_u32_e32 v27, vcc, v0, v27
	v_sub_f32_e32 v31, v83, v79
	v_addc_co_u32_e32 v28, vcc, v1, v28, vcc
	global_store_dwordx2 v[27:28], v[31:32], off
	v_add_u32_e32 v31, 0x168, v38
	v_mov_b32_e32 v37, v29
	v_mad_u64_u32 v[29:30], s[4:5], s2, v31, 0
	v_add_u32_e32 v33, 0x2d0, v38
	v_lshlrev_b64 v[27:28], 3, v[36:37]
	v_mov_b32_e32 v2, v30
	v_mad_u64_u32 v[30:31], s[4:5], s3, v31, v[2:3]
	v_mad_u64_u32 v[31:32], s[4:5], s2, v33, 0
	v_add_co_u32_e32 v27, vcc, v0, v27
	v_addc_co_u32_e32 v28, vcc, v1, v28, vcc
	v_mov_b32_e32 v2, v32
	global_store_dwordx2 v[27:28], v[96:97], off
	v_lshlrev_b64 v[27:28], 3, v[29:30]
	v_mad_u64_u32 v[29:30], s[4:5], s3, v33, v[2:3]
	v_add_co_u32_e32 v27, vcc, v0, v27
	v_addc_co_u32_e32 v28, vcc, v1, v28, vcc
	v_mov_b32_e32 v32, v29
	global_store_dwordx2 v[27:28], v[92:93], off
	v_lshlrev_b64 v[27:28], 3, v[31:32]
	v_add_u32_e32 v31, 0x438, v38
	v_mad_u64_u32 v[29:30], s[4:5], s2, v31, 0
	v_add_u32_e32 v33, 0x5a0, v38
	v_add_co_u32_e32 v27, vcc, v0, v27
	v_mov_b32_e32 v2, v30
	v_mad_u64_u32 v[30:31], s[4:5], s3, v31, v[2:3]
	v_mad_u64_u32 v[31:32], s[4:5], s2, v33, 0
	v_addc_co_u32_e32 v28, vcc, v1, v28, vcc
	v_mov_b32_e32 v2, v32
	global_store_dwordx2 v[27:28], v[73:74], off
	v_lshlrev_b64 v[27:28], 3, v[29:30]
	v_mad_u64_u32 v[29:30], s[4:5], s3, v33, v[2:3]
	v_add_co_u32_e32 v27, vcc, v0, v27
	v_addc_co_u32_e32 v28, vcc, v1, v28, vcc
	v_mov_b32_e32 v32, v29
	global_store_dwordx2 v[27:28], v[85:86], off
	v_lshlrev_b64 v[27:28], 3, v[31:32]
	v_add_u32_e32 v31, 0x708, v38
	v_add_u32_e32 v32, 0x78, v87
	v_mad_u64_u32 v[29:30], s[4:5], s2, v31, 0
	v_lshrrev_b32_e32 v2, 3, v32
	v_mul_hi_u32 v33, v2, s0
	v_mov_b32_e32 v2, v30
	v_mad_u64_u32 v[30:31], s[4:5], s3, v31, v[2:3]
	v_lshrrev_b32_e32 v2, 2, v33
	v_mul_u32_u24_e32 v31, 0x168, v2
	v_sub_u32_e32 v31, v32, v31
	v_mad_u32_u24 v33, v2, s1, v31
	v_mad_u64_u32 v[31:32], s[4:5], s2, v33, 0
	v_add_co_u32_e32 v27, vcc, v0, v27
	v_addc_co_u32_e32 v28, vcc, v1, v28, vcc
	v_mov_b32_e32 v2, v32
	global_store_dwordx2 v[27:28], v[75:76], off
	v_lshlrev_b64 v[27:28], 3, v[29:30]
	v_mad_u64_u32 v[29:30], s[4:5], s3, v33, v[2:3]
	v_add_co_u32_e32 v27, vcc, v0, v27
	v_addc_co_u32_e32 v28, vcc, v1, v28, vcc
	v_mov_b32_e32 v32, v29
	global_store_dwordx2 v[27:28], v[68:69], off
	v_lshlrev_b64 v[27:28], 3, v[31:32]
	v_add_u32_e32 v31, 0x168, v33
	v_mad_u64_u32 v[29:30], s[4:5], s2, v31, 0
	v_add_u32_e32 v34, 0x2d0, v33
	v_add_co_u32_e32 v27, vcc, v0, v27
	v_mov_b32_e32 v2, v30
	v_mad_u64_u32 v[30:31], s[4:5], s3, v31, v[2:3]
	v_mad_u64_u32 v[31:32], s[4:5], s2, v34, 0
	v_addc_co_u32_e32 v28, vcc, v1, v28, vcc
	v_mov_b32_e32 v2, v32
	global_store_dwordx2 v[27:28], v[66:67], off
	v_lshlrev_b64 v[27:28], 3, v[29:30]
	v_mad_u64_u32 v[29:30], s[4:5], s3, v34, v[2:3]
	v_add_co_u32_e32 v27, vcc, v0, v27
	v_addc_co_u32_e32 v28, vcc, v1, v28, vcc
	v_mov_b32_e32 v32, v29
	global_store_dwordx2 v[27:28], v[63:64], off
	v_lshlrev_b64 v[27:28], 3, v[31:32]
	v_add_u32_e32 v31, 0x438, v33
	v_mad_u64_u32 v[29:30], s[4:5], s2, v31, 0
	v_add_u32_e32 v34, 0x5a0, v33
	v_add_co_u32_e32 v27, vcc, v0, v27
	v_mov_b32_e32 v2, v30
	v_mad_u64_u32 v[30:31], s[4:5], s3, v31, v[2:3]
	v_mad_u64_u32 v[31:32], s[4:5], s2, v34, 0
	v_addc_co_u32_e32 v28, vcc, v1, v28, vcc
	v_mov_b32_e32 v2, v32
	global_store_dwordx2 v[27:28], v[61:62], off
	v_lshlrev_b64 v[27:28], 3, v[29:30]
	v_mad_u64_u32 v[29:30], s[4:5], s3, v34, v[2:3]
	v_add_co_u32_e32 v27, vcc, v0, v27
	v_addc_co_u32_e32 v28, vcc, v1, v28, vcc
	v_mov_b32_e32 v32, v29
	global_store_dwordx2 v[27:28], v[57:58], off
	v_lshlrev_b64 v[27:28], 3, v[31:32]
	v_add_u32_e32 v31, 0x708, v33
	v_add_u32_e32 v32, 0xb4, v87
	v_mad_u64_u32 v[29:30], s[4:5], s2, v31, 0
	v_lshrrev_b32_e32 v2, 3, v32
	v_mul_hi_u32 v33, v2, s0
	v_mov_b32_e32 v2, v30
	v_mad_u64_u32 v[30:31], s[4:5], s3, v31, v[2:3]
	v_lshrrev_b32_e32 v2, 2, v33
	v_mul_u32_u24_e32 v31, 0x168, v2
	v_sub_u32_e32 v31, v32, v31
	v_mad_u32_u24 v33, v2, s1, v31
	v_mad_u64_u32 v[31:32], s[4:5], s2, v33, 0
	v_add_co_u32_e32 v27, vcc, v0, v27
	v_addc_co_u32_e32 v28, vcc, v1, v28, vcc
	v_mov_b32_e32 v2, v32
	global_store_dwordx2 v[27:28], v[55:56], off
	v_lshlrev_b64 v[27:28], 3, v[29:30]
	v_mad_u64_u32 v[29:30], s[4:5], s3, v33, v[2:3]
	v_add_co_u32_e32 v27, vcc, v0, v27
	v_addc_co_u32_e32 v28, vcc, v1, v28, vcc
	v_mov_b32_e32 v32, v29
	global_store_dwordx2 v[27:28], v[53:54], off
	v_lshlrev_b64 v[27:28], 3, v[31:32]
	v_add_u32_e32 v31, 0x168, v33
	v_mad_u64_u32 v[29:30], s[4:5], s2, v31, 0
	v_add_u32_e32 v34, 0x2d0, v33
	v_add_co_u32_e32 v27, vcc, v0, v27
	v_mov_b32_e32 v2, v30
	v_mad_u64_u32 v[30:31], s[4:5], s3, v31, v[2:3]
	v_mad_u64_u32 v[31:32], s[4:5], s2, v34, 0
	;; [unrolled: 57-line block ×3, first 2 shown]
	v_addc_co_u32_e32 v28, vcc, v1, v28, vcc
	v_mov_b32_e32 v2, v32
	global_store_dwordx2 v[27:28], v[25:26], off
	v_mad_u64_u32 v[27:28], s[4:5], s3, v34, v[2:3]
	v_lshlrev_b64 v[25:26], 3, v[29:30]
	v_add_u32_e32 v29, 0x5a0, v33
	v_add_co_u32_e32 v25, vcc, v0, v25
	v_addc_co_u32_e32 v26, vcc, v1, v26, vcc
	v_mov_b32_e32 v32, v27
	v_add_u32_e32 v27, 0x438, v33
	global_store_dwordx2 v[25:26], v[23:24], off
	v_mad_u64_u32 v[25:26], s[4:5], s2, v27, 0
	v_lshlrev_b64 v[23:24], 3, v[31:32]
	v_mov_b32_e32 v2, v26
	v_mad_u64_u32 v[26:27], s[4:5], s3, v27, v[2:3]
	v_mad_u64_u32 v[27:28], s[4:5], s2, v29, 0
	v_add_co_u32_e32 v23, vcc, v0, v23
	v_addc_co_u32_e32 v24, vcc, v1, v24, vcc
	v_mov_b32_e32 v2, v28
	global_store_dwordx2 v[23:24], v[21:22], off
	v_mad_u64_u32 v[23:24], s[4:5], s3, v29, v[2:3]
	v_lshlrev_b64 v[21:22], 3, v[25:26]
	v_add_co_u32_e32 v21, vcc, v0, v21
	v_addc_co_u32_e32 v22, vcc, v1, v22, vcc
	v_mov_b32_e32 v28, v23
	v_add_u32_e32 v23, 0x708, v33
	global_store_dwordx2 v[21:22], v[19:20], off
	v_mad_u64_u32 v[21:22], s[4:5], s2, v23, 0
	v_lshlrev_b64 v[19:20], 3, v[27:28]
	v_mov_b32_e32 v2, v22
	v_mad_u64_u32 v[22:23], s[4:5], s3, v23, v[2:3]
	v_add_u32_e32 v2, 0x12c, v87
	v_lshrrev_b32_e32 v23, 3, v2
	v_mul_hi_u32 v23, v23, s0
	v_add_co_u32_e32 v19, vcc, v0, v19
	v_addc_co_u32_e32 v20, vcc, v1, v20, vcc
	global_store_dwordx2 v[19:20], v[17:18], off
	v_lshrrev_b32_e32 v19, 2, v23
	v_mul_u32_u24_e32 v20, 0x168, v19
	v_sub_u32_e32 v2, v2, v20
	v_mad_u32_u24 v23, v19, s1, v2
	v_mad_u64_u32 v[19:20], s[0:1], s2, v23, 0
	v_lshlrev_b64 v[17:18], 3, v[21:22]
	v_add_u32_e32 v24, 0x168, v23
	v_mov_b32_e32 v2, v20
	v_mad_u64_u32 v[20:21], s[0:1], s3, v23, v[2:3]
	v_mad_u64_u32 v[21:22], s[0:1], s2, v24, 0
	v_add_co_u32_e32 v17, vcc, v0, v17
	v_addc_co_u32_e32 v18, vcc, v1, v18, vcc
	v_mov_b32_e32 v2, v22
	global_store_dwordx2 v[17:18], v[15:16], off
	v_mad_u64_u32 v[17:18], s[0:1], s3, v24, v[2:3]
	v_lshlrev_b64 v[15:16], 3, v[19:20]
	v_add_u32_e32 v19, 0x438, v23
	v_add_co_u32_e32 v15, vcc, v0, v15
	v_addc_co_u32_e32 v16, vcc, v1, v16, vcc
	v_mov_b32_e32 v22, v17
	v_add_u32_e32 v17, 0x2d0, v23
	global_store_dwordx2 v[15:16], v[13:14], off
	v_mad_u64_u32 v[15:16], s[0:1], s2, v17, 0
	v_lshlrev_b64 v[13:14], 3, v[21:22]
	v_mov_b32_e32 v2, v16
	v_mad_u64_u32 v[16:17], s[0:1], s3, v17, v[2:3]
	v_mad_u64_u32 v[17:18], s[0:1], s2, v19, 0
	v_add_co_u32_e32 v13, vcc, v0, v13
	v_addc_co_u32_e32 v14, vcc, v1, v14, vcc
	v_mov_b32_e32 v2, v18
	global_store_dwordx2 v[13:14], v[11:12], off
	v_mad_u64_u32 v[13:14], s[0:1], s3, v19, v[2:3]
	v_lshlrev_b64 v[11:12], 3, v[15:16]
	v_add_u32_e32 v15, 0x708, v23
	v_add_co_u32_e32 v11, vcc, v0, v11
	v_addc_co_u32_e32 v12, vcc, v1, v12, vcc
	v_mov_b32_e32 v18, v13
	v_add_u32_e32 v13, 0x5a0, v23
	global_store_dwordx2 v[11:12], v[9:10], off
	v_mad_u64_u32 v[11:12], s[0:1], s2, v13, 0
	v_lshlrev_b64 v[9:10], 3, v[17:18]
	v_mov_b32_e32 v2, v12
	v_mad_u64_u32 v[12:13], s[0:1], s3, v13, v[2:3]
	v_mad_u64_u32 v[13:14], s[0:1], s2, v15, 0
	v_add_co_u32_e32 v9, vcc, v0, v9
	v_addc_co_u32_e32 v10, vcc, v1, v10, vcc
	v_mov_b32_e32 v2, v14
	global_store_dwordx2 v[9:10], v[5:6], off
	v_mad_u64_u32 v[9:10], s[0:1], s3, v15, v[2:3]
	v_lshlrev_b64 v[5:6], 3, v[11:12]
	v_add_co_u32_e32 v5, vcc, v0, v5
	v_addc_co_u32_e32 v6, vcc, v1, v6, vcc
	v_mov_b32_e32 v14, v9
	global_store_dwordx2 v[5:6], v[7:8], off
	v_lshlrev_b64 v[5:6], 3, v[13:14]
	v_add_co_u32_e32 v0, vcc, v0, v5
	v_addc_co_u32_e32 v1, vcc, v1, v6, vcc
	global_store_dwordx2 v[0:1], v[3:4], off
.LBB0_21:
	s_endpgm
	.section	.rodata,"a",@progbits
	.p2align	6, 0x0
	.amdhsa_kernel fft_rtc_back_len2160_factors_10_6_6_6_wgs_60_tpt_60_halfLds_sp_op_CI_CI_sbrr_dirReg
		.amdhsa_group_segment_fixed_size 0
		.amdhsa_private_segment_fixed_size 0
		.amdhsa_kernarg_size 104
		.amdhsa_user_sgpr_count 6
		.amdhsa_user_sgpr_private_segment_buffer 1
		.amdhsa_user_sgpr_dispatch_ptr 0
		.amdhsa_user_sgpr_queue_ptr 0
		.amdhsa_user_sgpr_kernarg_segment_ptr 1
		.amdhsa_user_sgpr_dispatch_id 0
		.amdhsa_user_sgpr_flat_scratch_init 0
		.amdhsa_user_sgpr_private_segment_size 0
		.amdhsa_uses_dynamic_stack 0
		.amdhsa_system_sgpr_private_segment_wavefront_offset 0
		.amdhsa_system_sgpr_workgroup_id_x 1
		.amdhsa_system_sgpr_workgroup_id_y 0
		.amdhsa_system_sgpr_workgroup_id_z 0
		.amdhsa_system_sgpr_workgroup_info 0
		.amdhsa_system_vgpr_workitem_id 0
		.amdhsa_next_free_vgpr 136
		.amdhsa_next_free_sgpr 32
		.amdhsa_reserve_vcc 1
		.amdhsa_reserve_flat_scratch 0
		.amdhsa_float_round_mode_32 0
		.amdhsa_float_round_mode_16_64 0
		.amdhsa_float_denorm_mode_32 3
		.amdhsa_float_denorm_mode_16_64 3
		.amdhsa_dx10_clamp 1
		.amdhsa_ieee_mode 1
		.amdhsa_fp16_overflow 0
		.amdhsa_exception_fp_ieee_invalid_op 0
		.amdhsa_exception_fp_denorm_src 0
		.amdhsa_exception_fp_ieee_div_zero 0
		.amdhsa_exception_fp_ieee_overflow 0
		.amdhsa_exception_fp_ieee_underflow 0
		.amdhsa_exception_fp_ieee_inexact 0
		.amdhsa_exception_int_div_zero 0
	.end_amdhsa_kernel
	.text
.Lfunc_end0:
	.size	fft_rtc_back_len2160_factors_10_6_6_6_wgs_60_tpt_60_halfLds_sp_op_CI_CI_sbrr_dirReg, .Lfunc_end0-fft_rtc_back_len2160_factors_10_6_6_6_wgs_60_tpt_60_halfLds_sp_op_CI_CI_sbrr_dirReg
                                        ; -- End function
	.section	.AMDGPU.csdata,"",@progbits
; Kernel info:
; codeLenInByte = 19824
; NumSgprs: 36
; NumVgprs: 136
; ScratchSize: 0
; MemoryBound: 0
; FloatMode: 240
; IeeeMode: 1
; LDSByteSize: 0 bytes/workgroup (compile time only)
; SGPRBlocks: 4
; VGPRBlocks: 33
; NumSGPRsForWavesPerEU: 36
; NumVGPRsForWavesPerEU: 136
; Occupancy: 1
; WaveLimiterHint : 1
; COMPUTE_PGM_RSRC2:SCRATCH_EN: 0
; COMPUTE_PGM_RSRC2:USER_SGPR: 6
; COMPUTE_PGM_RSRC2:TRAP_HANDLER: 0
; COMPUTE_PGM_RSRC2:TGID_X_EN: 1
; COMPUTE_PGM_RSRC2:TGID_Y_EN: 0
; COMPUTE_PGM_RSRC2:TGID_Z_EN: 0
; COMPUTE_PGM_RSRC2:TIDIG_COMP_CNT: 0
	.type	__hip_cuid_b5f386355442ceb5,@object ; @__hip_cuid_b5f386355442ceb5
	.section	.bss,"aw",@nobits
	.globl	__hip_cuid_b5f386355442ceb5
__hip_cuid_b5f386355442ceb5:
	.byte	0                               ; 0x0
	.size	__hip_cuid_b5f386355442ceb5, 1

	.ident	"AMD clang version 19.0.0git (https://github.com/RadeonOpenCompute/llvm-project roc-6.4.0 25133 c7fe45cf4b819c5991fe208aaa96edf142730f1d)"
	.section	".note.GNU-stack","",@progbits
	.addrsig
	.addrsig_sym __hip_cuid_b5f386355442ceb5
	.amdgpu_metadata
---
amdhsa.kernels:
  - .args:
      - .actual_access:  read_only
        .address_space:  global
        .offset:         0
        .size:           8
        .value_kind:     global_buffer
      - .offset:         8
        .size:           8
        .value_kind:     by_value
      - .actual_access:  read_only
        .address_space:  global
        .offset:         16
        .size:           8
        .value_kind:     global_buffer
      - .actual_access:  read_only
        .address_space:  global
        .offset:         24
        .size:           8
        .value_kind:     global_buffer
      - .actual_access:  read_only
        .address_space:  global
        .offset:         32
        .size:           8
        .value_kind:     global_buffer
      - .offset:         40
        .size:           8
        .value_kind:     by_value
      - .actual_access:  read_only
        .address_space:  global
        .offset:         48
        .size:           8
        .value_kind:     global_buffer
      - .actual_access:  read_only
        .address_space:  global
        .offset:         56
        .size:           8
        .value_kind:     global_buffer
      - .offset:         64
        .size:           4
        .value_kind:     by_value
      - .actual_access:  read_only
        .address_space:  global
        .offset:         72
        .size:           8
        .value_kind:     global_buffer
      - .actual_access:  read_only
        .address_space:  global
        .offset:         80
        .size:           8
        .value_kind:     global_buffer
      - .actual_access:  read_only
        .address_space:  global
        .offset:         88
        .size:           8
        .value_kind:     global_buffer
      - .actual_access:  write_only
        .address_space:  global
        .offset:         96
        .size:           8
        .value_kind:     global_buffer
    .group_segment_fixed_size: 0
    .kernarg_segment_align: 8
    .kernarg_segment_size: 104
    .language:       OpenCL C
    .language_version:
      - 2
      - 0
    .max_flat_workgroup_size: 60
    .name:           fft_rtc_back_len2160_factors_10_6_6_6_wgs_60_tpt_60_halfLds_sp_op_CI_CI_sbrr_dirReg
    .private_segment_fixed_size: 0
    .sgpr_count:     36
    .sgpr_spill_count: 0
    .symbol:         fft_rtc_back_len2160_factors_10_6_6_6_wgs_60_tpt_60_halfLds_sp_op_CI_CI_sbrr_dirReg.kd
    .uniform_work_group_size: 1
    .uses_dynamic_stack: false
    .vgpr_count:     136
    .vgpr_spill_count: 0
    .wavefront_size: 64
amdhsa.target:   amdgcn-amd-amdhsa--gfx906
amdhsa.version:
  - 1
  - 2
...

	.end_amdgpu_metadata
